;; amdgpu-corpus repo=ROCm/rocFFT kind=compiled arch=gfx1201 opt=O3
	.text
	.amdgcn_target "amdgcn-amd-amdhsa--gfx1201"
	.amdhsa_code_object_version 6
	.protected	fft_rtc_back_len3072_factors_6_4_4_4_4_2_wgs_256_tpt_256_halfLds_dp_op_CI_CI_unitstride_sbrr_C2R_dirReg ; -- Begin function fft_rtc_back_len3072_factors_6_4_4_4_4_2_wgs_256_tpt_256_halfLds_dp_op_CI_CI_unitstride_sbrr_C2R_dirReg
	.globl	fft_rtc_back_len3072_factors_6_4_4_4_4_2_wgs_256_tpt_256_halfLds_dp_op_CI_CI_unitstride_sbrr_C2R_dirReg
	.p2align	8
	.type	fft_rtc_back_len3072_factors_6_4_4_4_4_2_wgs_256_tpt_256_halfLds_dp_op_CI_CI_unitstride_sbrr_C2R_dirReg,@function
fft_rtc_back_len3072_factors_6_4_4_4_4_2_wgs_256_tpt_256_halfLds_dp_op_CI_CI_unitstride_sbrr_C2R_dirReg: ; @fft_rtc_back_len3072_factors_6_4_4_4_4_2_wgs_256_tpt_256_halfLds_dp_op_CI_CI_unitstride_sbrr_C2R_dirReg
; %bb.0:
	s_clause 0x2
	s_load_b128 s[8:11], s[0:1], 0x0
	s_load_b128 s[4:7], s[0:1], 0x58
	;; [unrolled: 1-line block ×3, first 2 shown]
	v_mov_b32_e32 v3, 0
	v_mov_b32_e32 v1, 0
	v_dual_mov_b32 v2, 0 :: v_dual_mov_b32 v9, ttmp9
	s_mov_b32 s3, 0
	s_delay_alu instid0(VALU_DEP_3) | instskip(SKIP_2) | instid1(VALU_DEP_1)
	v_mov_b32_e32 v10, v3
	s_wait_kmcnt 0x0
	v_cmp_lt_u64_e64 s2, s[10:11], 2
	s_and_b32 vcc_lo, exec_lo, s2
	s_cbranch_vccnz .LBB0_8
; %bb.1:
	s_load_b64 s[20:21], s[0:1], 0x10
	v_mov_b32_e32 v1, 0
	v_mov_b32_e32 v2, 0
	s_add_nc_u64 s[16:17], s[14:15], 8
	s_add_nc_u64 s[18:19], s[12:13], 8
	s_mov_b64 s[22:23], 1
	s_delay_alu instid0(VALU_DEP_1)
	v_dual_mov_b32 v6, v2 :: v_dual_mov_b32 v5, v1
	s_wait_kmcnt 0x0
	s_add_nc_u64 s[20:21], s[20:21], 8
.LBB0_2:                                ; =>This Inner Loop Header: Depth=1
	s_load_b64 s[24:25], s[20:21], 0x0
                                        ; implicit-def: $vgpr7_vgpr8
	s_mov_b32 s2, exec_lo
	s_wait_kmcnt 0x0
	v_or_b32_e32 v4, s25, v10
	s_delay_alu instid0(VALU_DEP_1)
	v_cmpx_ne_u64_e32 0, v[3:4]
	s_wait_alu 0xfffe
	s_xor_b32 s26, exec_lo, s2
	s_cbranch_execz .LBB0_4
; %bb.3:                                ;   in Loop: Header=BB0_2 Depth=1
	s_cvt_f32_u32 s2, s24
	s_cvt_f32_u32 s27, s25
	s_sub_nc_u64 s[30:31], 0, s[24:25]
	s_wait_alu 0xfffe
	s_delay_alu instid0(SALU_CYCLE_1) | instskip(SKIP_1) | instid1(SALU_CYCLE_2)
	s_fmamk_f32 s2, s27, 0x4f800000, s2
	s_wait_alu 0xfffe
	v_s_rcp_f32 s2, s2
	s_delay_alu instid0(TRANS32_DEP_1) | instskip(SKIP_1) | instid1(SALU_CYCLE_2)
	s_mul_f32 s2, s2, 0x5f7ffffc
	s_wait_alu 0xfffe
	s_mul_f32 s27, s2, 0x2f800000
	s_wait_alu 0xfffe
	s_delay_alu instid0(SALU_CYCLE_2) | instskip(SKIP_1) | instid1(SALU_CYCLE_2)
	s_trunc_f32 s27, s27
	s_wait_alu 0xfffe
	s_fmamk_f32 s2, s27, 0xcf800000, s2
	s_cvt_u32_f32 s29, s27
	s_wait_alu 0xfffe
	s_delay_alu instid0(SALU_CYCLE_1) | instskip(SKIP_1) | instid1(SALU_CYCLE_2)
	s_cvt_u32_f32 s28, s2
	s_wait_alu 0xfffe
	s_mul_u64 s[34:35], s[30:31], s[28:29]
	s_wait_alu 0xfffe
	s_mul_hi_u32 s37, s28, s35
	s_mul_i32 s36, s28, s35
	s_mul_hi_u32 s2, s28, s34
	s_mul_i32 s33, s29, s34
	s_wait_alu 0xfffe
	s_add_nc_u64 s[36:37], s[2:3], s[36:37]
	s_mul_hi_u32 s27, s29, s34
	s_mul_hi_u32 s38, s29, s35
	s_add_co_u32 s2, s36, s33
	s_wait_alu 0xfffe
	s_add_co_ci_u32 s2, s37, s27
	s_mul_i32 s34, s29, s35
	s_add_co_ci_u32 s35, s38, 0
	s_wait_alu 0xfffe
	s_add_nc_u64 s[34:35], s[2:3], s[34:35]
	s_wait_alu 0xfffe
	v_add_co_u32 v4, s2, s28, s34
	s_delay_alu instid0(VALU_DEP_1) | instskip(SKIP_1) | instid1(VALU_DEP_1)
	s_cmp_lg_u32 s2, 0
	s_add_co_ci_u32 s29, s29, s35
	v_readfirstlane_b32 s28, v4
	s_wait_alu 0xfffe
	s_delay_alu instid0(VALU_DEP_1)
	s_mul_u64 s[30:31], s[30:31], s[28:29]
	s_wait_alu 0xfffe
	s_mul_hi_u32 s35, s28, s31
	s_mul_i32 s34, s28, s31
	s_mul_hi_u32 s2, s28, s30
	s_mul_i32 s33, s29, s30
	s_wait_alu 0xfffe
	s_add_nc_u64 s[34:35], s[2:3], s[34:35]
	s_mul_hi_u32 s27, s29, s30
	s_mul_hi_u32 s28, s29, s31
	s_wait_alu 0xfffe
	s_add_co_u32 s2, s34, s33
	s_add_co_ci_u32 s2, s35, s27
	s_mul_i32 s30, s29, s31
	s_add_co_ci_u32 s31, s28, 0
	s_wait_alu 0xfffe
	s_add_nc_u64 s[30:31], s[2:3], s[30:31]
	s_wait_alu 0xfffe
	v_add_co_u32 v4, s2, v4, s30
	s_delay_alu instid0(VALU_DEP_1) | instskip(SKIP_1) | instid1(VALU_DEP_1)
	s_cmp_lg_u32 s2, 0
	s_add_co_ci_u32 s2, s29, s31
	v_mul_hi_u32 v15, v9, v4
	s_wait_alu 0xfffe
	v_mad_co_u64_u32 v[7:8], null, v9, s2, 0
	v_mad_co_u64_u32 v[11:12], null, v10, v4, 0
	;; [unrolled: 1-line block ×3, first 2 shown]
	s_delay_alu instid0(VALU_DEP_3) | instskip(SKIP_1) | instid1(VALU_DEP_4)
	v_add_co_u32 v4, vcc_lo, v15, v7
	s_wait_alu 0xfffd
	v_add_co_ci_u32_e32 v7, vcc_lo, 0, v8, vcc_lo
	s_delay_alu instid0(VALU_DEP_2) | instskip(SKIP_1) | instid1(VALU_DEP_2)
	v_add_co_u32 v4, vcc_lo, v4, v11
	s_wait_alu 0xfffd
	v_add_co_ci_u32_e32 v4, vcc_lo, v7, v12, vcc_lo
	s_wait_alu 0xfffd
	v_add_co_ci_u32_e32 v7, vcc_lo, 0, v14, vcc_lo
	s_delay_alu instid0(VALU_DEP_2) | instskip(SKIP_1) | instid1(VALU_DEP_2)
	v_add_co_u32 v4, vcc_lo, v4, v13
	s_wait_alu 0xfffd
	v_add_co_ci_u32_e32 v11, vcc_lo, 0, v7, vcc_lo
	s_delay_alu instid0(VALU_DEP_2) | instskip(SKIP_1) | instid1(VALU_DEP_3)
	v_mul_lo_u32 v12, s25, v4
	v_mad_co_u64_u32 v[7:8], null, s24, v4, 0
	v_mul_lo_u32 v13, s24, v11
	s_delay_alu instid0(VALU_DEP_2) | instskip(NEXT) | instid1(VALU_DEP_2)
	v_sub_co_u32 v7, vcc_lo, v9, v7
	v_add3_u32 v8, v8, v13, v12
	s_delay_alu instid0(VALU_DEP_1) | instskip(SKIP_1) | instid1(VALU_DEP_1)
	v_sub_nc_u32_e32 v12, v10, v8
	s_wait_alu 0xfffd
	v_subrev_co_ci_u32_e64 v12, s2, s25, v12, vcc_lo
	v_add_co_u32 v13, s2, v4, 2
	s_wait_alu 0xf1ff
	v_add_co_ci_u32_e64 v14, s2, 0, v11, s2
	v_sub_co_u32 v15, s2, v7, s24
	v_sub_co_ci_u32_e32 v8, vcc_lo, v10, v8, vcc_lo
	s_wait_alu 0xf1ff
	v_subrev_co_ci_u32_e64 v12, s2, 0, v12, s2
	s_delay_alu instid0(VALU_DEP_3) | instskip(NEXT) | instid1(VALU_DEP_3)
	v_cmp_le_u32_e32 vcc_lo, s24, v15
	v_cmp_eq_u32_e64 s2, s25, v8
	s_wait_alu 0xfffd
	v_cndmask_b32_e64 v15, 0, -1, vcc_lo
	v_cmp_le_u32_e32 vcc_lo, s25, v12
	s_wait_alu 0xfffd
	v_cndmask_b32_e64 v16, 0, -1, vcc_lo
	v_cmp_le_u32_e32 vcc_lo, s24, v7
	;; [unrolled: 3-line block ×3, first 2 shown]
	s_wait_alu 0xfffd
	v_cndmask_b32_e64 v17, 0, -1, vcc_lo
	v_cmp_eq_u32_e32 vcc_lo, s25, v12
	s_wait_alu 0xf1ff
	s_delay_alu instid0(VALU_DEP_2)
	v_cndmask_b32_e64 v7, v17, v7, s2
	s_wait_alu 0xfffd
	v_cndmask_b32_e32 v12, v16, v15, vcc_lo
	v_add_co_u32 v15, vcc_lo, v4, 1
	s_wait_alu 0xfffd
	v_add_co_ci_u32_e32 v16, vcc_lo, 0, v11, vcc_lo
	s_delay_alu instid0(VALU_DEP_3) | instskip(SKIP_1) | instid1(VALU_DEP_2)
	v_cmp_ne_u32_e32 vcc_lo, 0, v12
	s_wait_alu 0xfffd
	v_cndmask_b32_e32 v8, v16, v14, vcc_lo
	v_cndmask_b32_e32 v12, v15, v13, vcc_lo
	v_cmp_ne_u32_e32 vcc_lo, 0, v7
	s_wait_alu 0xfffd
	s_delay_alu instid0(VALU_DEP_3) | instskip(NEXT) | instid1(VALU_DEP_3)
	v_cndmask_b32_e32 v8, v11, v8, vcc_lo
	v_cndmask_b32_e32 v7, v4, v12, vcc_lo
.LBB0_4:                                ;   in Loop: Header=BB0_2 Depth=1
	s_wait_alu 0xfffe
	s_and_not1_saveexec_b32 s2, s26
	s_cbranch_execz .LBB0_6
; %bb.5:                                ;   in Loop: Header=BB0_2 Depth=1
	v_cvt_f32_u32_e32 v4, s24
	s_sub_co_i32 s26, 0, s24
	s_delay_alu instid0(VALU_DEP_1) | instskip(NEXT) | instid1(TRANS32_DEP_1)
	v_rcp_iflag_f32_e32 v4, v4
	v_mul_f32_e32 v4, 0x4f7ffffe, v4
	s_delay_alu instid0(VALU_DEP_1) | instskip(SKIP_1) | instid1(VALU_DEP_1)
	v_cvt_u32_f32_e32 v4, v4
	s_wait_alu 0xfffe
	v_mul_lo_u32 v7, s26, v4
	s_delay_alu instid0(VALU_DEP_1) | instskip(NEXT) | instid1(VALU_DEP_1)
	v_mul_hi_u32 v7, v4, v7
	v_add_nc_u32_e32 v4, v4, v7
	s_delay_alu instid0(VALU_DEP_1) | instskip(NEXT) | instid1(VALU_DEP_1)
	v_mul_hi_u32 v4, v9, v4
	v_mul_lo_u32 v7, v4, s24
	v_add_nc_u32_e32 v8, 1, v4
	s_delay_alu instid0(VALU_DEP_2) | instskip(NEXT) | instid1(VALU_DEP_1)
	v_sub_nc_u32_e32 v7, v9, v7
	v_subrev_nc_u32_e32 v11, s24, v7
	v_cmp_le_u32_e32 vcc_lo, s24, v7
	s_wait_alu 0xfffd
	s_delay_alu instid0(VALU_DEP_2) | instskip(NEXT) | instid1(VALU_DEP_1)
	v_dual_cndmask_b32 v7, v7, v11 :: v_dual_cndmask_b32 v4, v4, v8
	v_cmp_le_u32_e32 vcc_lo, s24, v7
	s_delay_alu instid0(VALU_DEP_2) | instskip(SKIP_1) | instid1(VALU_DEP_1)
	v_add_nc_u32_e32 v8, 1, v4
	s_wait_alu 0xfffd
	v_dual_cndmask_b32 v7, v4, v8 :: v_dual_mov_b32 v8, v3
.LBB0_6:                                ;   in Loop: Header=BB0_2 Depth=1
	s_wait_alu 0xfffe
	s_or_b32 exec_lo, exec_lo, s2
	s_delay_alu instid0(VALU_DEP_1) | instskip(NEXT) | instid1(VALU_DEP_2)
	v_mul_lo_u32 v4, v8, s24
	v_mul_lo_u32 v13, v7, s25
	s_load_b64 s[26:27], s[18:19], 0x0
	v_mad_co_u64_u32 v[11:12], null, v7, s24, 0
	s_load_b64 s[24:25], s[16:17], 0x0
	s_add_nc_u64 s[22:23], s[22:23], 1
	s_add_nc_u64 s[16:17], s[16:17], 8
	s_wait_alu 0xfffe
	v_cmp_ge_u64_e64 s2, s[22:23], s[10:11]
	s_add_nc_u64 s[18:19], s[18:19], 8
	s_add_nc_u64 s[20:21], s[20:21], 8
	v_add3_u32 v4, v12, v13, v4
	v_sub_co_u32 v9, vcc_lo, v9, v11
	s_wait_alu 0xfffd
	s_delay_alu instid0(VALU_DEP_2) | instskip(SKIP_2) | instid1(VALU_DEP_1)
	v_sub_co_ci_u32_e32 v4, vcc_lo, v10, v4, vcc_lo
	s_and_b32 vcc_lo, exec_lo, s2
	s_wait_kmcnt 0x0
	v_mul_lo_u32 v10, s26, v4
	v_mul_lo_u32 v11, s27, v9
	v_mad_co_u64_u32 v[1:2], null, s26, v9, v[1:2]
	v_mul_lo_u32 v4, s24, v4
	v_mul_lo_u32 v12, s25, v9
	v_mad_co_u64_u32 v[5:6], null, s24, v9, v[5:6]
	s_delay_alu instid0(VALU_DEP_4) | instskip(NEXT) | instid1(VALU_DEP_2)
	v_add3_u32 v2, v11, v2, v10
	v_add3_u32 v6, v12, v6, v4
	s_wait_alu 0xfffe
	s_cbranch_vccnz .LBB0_9
; %bb.7:                                ;   in Loop: Header=BB0_2 Depth=1
	v_dual_mov_b32 v10, v8 :: v_dual_mov_b32 v9, v7
	s_branch .LBB0_2
.LBB0_8:
	v_dual_mov_b32 v6, v2 :: v_dual_mov_b32 v5, v1
	v_dual_mov_b32 v7, v9 :: v_dual_mov_b32 v8, v10
.LBB0_9:
	s_load_b64 s[0:1], s[0:1], 0x28
	s_lshl_b64 s[10:11], s[10:11], 3
                                        ; implicit-def: $vgpr9
                                        ; implicit-def: $vgpr12_vgpr13
	s_wait_alu 0xfffe
	s_add_nc_u64 s[2:3], s[14:15], s[10:11]
	s_wait_kmcnt 0x0
	v_cmp_gt_u64_e32 vcc_lo, s[0:1], v[7:8]
	v_cmp_le_u64_e64 s0, s[0:1], v[7:8]
	s_delay_alu instid0(VALU_DEP_1)
	s_and_saveexec_b32 s1, s0
	s_wait_alu 0xfffe
	s_xor_b32 s0, exec_lo, s1
; %bb.10:
	v_mov_b32_e32 v1, 0
	v_mov_b32_e32 v9, v0
	s_delay_alu instid0(VALU_DEP_2)
	v_dual_mov_b32 v13, v1 :: v_dual_mov_b32 v12, v0
                                        ; implicit-def: $vgpr1_vgpr2
; %bb.11:
	s_wait_alu 0xfffe
	s_or_saveexec_b32 s1, s0
	s_load_b64 s[2:3], s[2:3], 0x0
                                        ; implicit-def: $vgpr11
	s_xor_b32 exec_lo, exec_lo, s1
	s_cbranch_execz .LBB0_15
; %bb.12:
	s_add_nc_u64 s[10:11], s[12:13], s[10:11]
	v_lshlrev_b64_e32 v[1:2], 4, v[1:2]
	s_load_b64 s[10:11], s[10:11], 0x0
	v_lshlrev_b32_e32 v13, 4, v0
	s_delay_alu instid0(VALU_DEP_1)
	v_or_b32_e32 v62, 0x3000, v13
	v_or_b32_e32 v63, 0x7000, v13
	s_wait_kmcnt 0x0
	v_mul_lo_u32 v9, s11, v7
	v_mul_lo_u32 v10, s10, v8
	v_mad_co_u64_u32 v[3:4], null, s10, v7, 0
	s_delay_alu instid0(VALU_DEP_1) | instskip(NEXT) | instid1(VALU_DEP_1)
	v_add3_u32 v4, v4, v10, v9
	v_lshlrev_b64_e32 v[3:4], 4, v[3:4]
	s_delay_alu instid0(VALU_DEP_1) | instskip(SKIP_1) | instid1(VALU_DEP_2)
	v_add_co_u32 v3, s0, s4, v3
	s_wait_alu 0xf1ff
	v_add_co_ci_u32_e64 v4, s0, s5, v4, s0
	s_mov_b32 s4, exec_lo
	s_delay_alu instid0(VALU_DEP_2) | instskip(SKIP_1) | instid1(VALU_DEP_2)
	v_add_co_u32 v1, s0, v3, v1
	s_wait_alu 0xf1ff
	v_add_co_ci_u32_e64 v3, s0, v4, v2, s0
	v_or_b32_e32 v4, 0xb000, v13
	s_delay_alu instid0(VALU_DEP_3) | instskip(SKIP_1) | instid1(VALU_DEP_3)
	v_add_co_u32 v9, s0, v1, v13
	s_wait_alu 0xf1ff
	v_add_co_ci_u32_e64 v10, s0, 0, v3, s0
	v_add_co_u32 v11, s0, v1, v62
	s_wait_alu 0xf1ff
	v_add_co_ci_u32_e64 v12, s0, 0, v3, s0
	;; [unrolled: 3-line block ×4, first 2 shown]
	s_clause 0xb
	global_load_b128 v[14:17], v[9:10], off
	global_load_b128 v[18:21], v[9:10], off offset:4096
	global_load_b128 v[22:25], v[9:10], off offset:8192
	;; [unrolled: 1-line block ×5, first 2 shown]
	global_load_b128 v[38:41], v[11:12], off
	global_load_b128 v[42:45], v[42:43], off
	global_load_b128 v[46:49], v[9:10], off offset:36864
	global_load_b128 v[50:53], v[9:10], off offset:40960
	;; [unrolled: 1-line block ×3, first 2 shown]
	global_load_b128 v[58:61], v[2:3], off
	v_dual_mov_b32 v1, 0 :: v_dual_add_nc_u32 v10, 0, v13
	v_mov_b32_e32 v9, v0
	v_add_nc_u32_e32 v11, 0, v62
	s_delay_alu instid0(VALU_DEP_3)
	v_dual_mov_b32 v13, v1 :: v_dual_add_nc_u32 v62, 0, v63
	v_dual_mov_b32 v12, v0 :: v_dual_add_nc_u32 v1, 0, v4
	s_wait_loadcnt 0xb
	ds_store_b128 v10, v[14:17]
	s_wait_loadcnt 0xa
	ds_store_b128 v10, v[18:21] offset:4096
	s_wait_loadcnt 0x9
	ds_store_b128 v10, v[22:25] offset:8192
	;; [unrolled: 2-line block ×5, first 2 shown]
	s_wait_loadcnt 0x5
	ds_store_b128 v11, v[38:41]
	s_wait_loadcnt 0x4
	ds_store_b128 v62, v[42:45]
	s_wait_loadcnt 0x3
	ds_store_b128 v10, v[46:49] offset:36864
	s_wait_loadcnt 0x2
	ds_store_b128 v10, v[50:53] offset:40960
	s_wait_loadcnt 0x1
	ds_store_b128 v10, v[54:57] offset:32768
	s_wait_loadcnt 0x0
	ds_store_b128 v1, v[58:61]
	v_cmpx_eq_u32_e32 0xff, v0
	s_cbranch_execz .LBB0_14
; %bb.13:
	global_load_b128 v[14:17], v[2:3], off offset:16
	v_dual_mov_b32 v12, 0xff :: v_dual_mov_b32 v9, 0xff
	v_mov_b32_e32 v13, 0
	s_wait_loadcnt 0x0
	ds_store_b128 v1, v[14:17] offset:16
.LBB0_14:
	s_wait_alu 0xfffe
	s_or_b32 exec_lo, exec_lo, s4
	v_mov_b32_e32 v11, v9
.LBB0_15:
	s_or_b32 exec_lo, exec_lo, s1
	v_lshlrev_b32_e32 v1, 4, v9
	global_wb scope:SCOPE_SE
	s_wait_dscnt 0x0
	s_wait_kmcnt 0x0
	s_barrier_signal -1
	s_barrier_wait -1
	global_inv scope:SCOPE_SE
	v_add_nc_u32_e32 v18, 0, v1
	v_sub_nc_u32_e32 v19, 0, v1
	v_lshlrev_b64_e32 v[12:13], 4, v[12:13]
	s_mov_b32 s1, exec_lo
	ds_load_b64 v[14:15], v18
	ds_load_b64 v[16:17], v19 offset:49152
	s_wait_dscnt 0x0
	v_add_f64_e32 v[1:2], v[14:15], v[16:17]
	v_add_f64_e64 v[3:4], v[14:15], -v[16:17]
	v_cmpx_ne_u32_e32 0, v9
	s_wait_alu 0xfffe
	s_xor_b32 s1, exec_lo, s1
	s_cbranch_execz .LBB0_17
; %bb.16:
	v_add_co_u32 v1, s0, s8, v12
	s_wait_alu 0xf1ff
	v_add_co_ci_u32_e64 v2, s0, s9, v13, s0
	v_add_f64_e32 v[24:25], v[14:15], v[16:17]
	v_add_f64_e64 v[26:27], v[14:15], -v[16:17]
	global_load_b128 v[20:23], v[1:2], off offset:49056
	ds_load_b64 v[1:2], v19 offset:49160
	ds_load_b64 v[3:4], v18 offset:8
	s_wait_dscnt 0x0
	v_add_f64_e32 v[14:15], v[1:2], v[3:4]
	v_add_f64_e64 v[1:2], v[3:4], -v[1:2]
	s_wait_loadcnt 0x0
	v_fma_f64 v[3:4], v[26:27], v[22:23], v[24:25]
	v_fma_f64 v[16:17], -v[26:27], v[22:23], v[24:25]
	s_delay_alu instid0(VALU_DEP_3) | instskip(SKIP_1) | instid1(VALU_DEP_4)
	v_fma_f64 v[24:25], v[14:15], v[22:23], -v[1:2]
	v_fma_f64 v[22:23], v[14:15], v[22:23], v[1:2]
	v_fma_f64 v[1:2], -v[14:15], v[20:21], v[3:4]
	s_delay_alu instid0(VALU_DEP_4) | instskip(NEXT) | instid1(VALU_DEP_4)
	v_fma_f64 v[14:15], v[14:15], v[20:21], v[16:17]
	v_fma_f64 v[16:17], v[26:27], v[20:21], v[24:25]
	s_delay_alu instid0(VALU_DEP_4)
	v_fma_f64 v[3:4], v[26:27], v[20:21], v[22:23]
	ds_store_b128 v19, v[14:17] offset:49152
.LBB0_17:
	s_wait_alu 0xfffe
	s_and_not1_saveexec_b32 s0, s1
	s_cbranch_execz .LBB0_19
; %bb.18:
	v_mov_b32_e32 v10, 0
	ds_load_b128 v[14:17], v10 offset:24576
	s_wait_dscnt 0x0
	v_add_f64_e32 v[14:15], v[14:15], v[14:15]
	v_mul_f64_e32 v[16:17], -2.0, v[16:17]
	ds_store_b128 v10, v[14:17] offset:24576
.LBB0_19:
	s_wait_alu 0xfffe
	s_or_b32 exec_lo, exec_lo, s0
	v_mov_b32_e32 v10, 0
	s_add_nc_u64 s[0:1], s[8:9], 0xbfa0
	s_mov_b32 s5, 0x3febb67a
	s_delay_alu instid0(VALU_DEP_1) | instskip(SKIP_1) | instid1(VALU_DEP_1)
	v_lshlrev_b64_e32 v[14:15], 4, v[9:10]
	s_wait_alu 0xfffe
	v_add_co_u32 v16, s0, s0, v14
	s_wait_alu 0xf1ff
	s_delay_alu instid0(VALU_DEP_2)
	v_add_co_ci_u32_e64 v17, s0, s1, v15, s0
	s_mov_b32 s0, 0xe8584caa
	s_mov_b32 s1, 0xbfebb67a
	s_wait_alu 0xfffe
	s_mov_b32 s4, s0
	s_clause 0x1
	global_load_b128 v[20:23], v[16:17], off offset:4096
	global_load_b128 v[24:27], v[16:17], off offset:8192
	ds_store_b128 v18, v[1:4]
	ds_load_b128 v[28:31], v18 offset:4096
	ds_load_b128 v[32:35], v19 offset:45056
	v_lshl_or_b32 v2, v0, 4, 0x3000
	s_delay_alu instid0(VALU_DEP_1)
	v_add_nc_u32_e32 v1, 0, v2
	global_load_b128 v[36:39], v2, s[8:9] offset:49056
	s_wait_dscnt 0x0
	v_add_f64_e32 v[3:4], v[28:29], v[32:33]
	v_add_f64_e32 v[40:41], v[34:35], v[30:31]
	v_add_f64_e64 v[42:43], v[28:29], -v[32:33]
	v_add_f64_e64 v[28:29], v[30:31], -v[34:35]
	s_wait_loadcnt 0x2
	s_delay_alu instid0(VALU_DEP_2) | instskip(NEXT) | instid1(VALU_DEP_2)
	v_fma_f64 v[30:31], v[42:43], v[22:23], v[3:4]
	v_fma_f64 v[32:33], v[40:41], v[22:23], v[28:29]
	v_fma_f64 v[3:4], -v[42:43], v[22:23], v[3:4]
	v_fma_f64 v[22:23], v[40:41], v[22:23], -v[28:29]
	s_delay_alu instid0(VALU_DEP_4) | instskip(NEXT) | instid1(VALU_DEP_4)
	v_fma_f64 v[28:29], -v[40:41], v[20:21], v[30:31]
	v_fma_f64 v[30:31], v[42:43], v[20:21], v[32:33]
	s_delay_alu instid0(VALU_DEP_4) | instskip(NEXT) | instid1(VALU_DEP_4)
	v_fma_f64 v[32:33], v[40:41], v[20:21], v[3:4]
	v_fma_f64 v[34:35], v[42:43], v[20:21], v[22:23]
	ds_store_b128 v18, v[28:31] offset:4096
	ds_store_b128 v19, v[32:35] offset:45056
	ds_load_b128 v[20:23], v18 offset:8192
	ds_load_b128 v[28:31], v19 offset:40960
	global_load_b128 v[32:35], v[16:17], off offset:16384
	s_wait_dscnt 0x0
	v_add_f64_e32 v[3:4], v[20:21], v[28:29]
	v_add_f64_e32 v[40:41], v[30:31], v[22:23]
	v_add_f64_e64 v[28:29], v[20:21], -v[28:29]
	v_add_f64_e64 v[20:21], v[22:23], -v[30:31]
	s_wait_loadcnt 0x2
	s_delay_alu instid0(VALU_DEP_2) | instskip(NEXT) | instid1(VALU_DEP_2)
	v_fma_f64 v[22:23], v[28:29], v[26:27], v[3:4]
	v_fma_f64 v[30:31], v[40:41], v[26:27], v[20:21]
	v_fma_f64 v[3:4], -v[28:29], v[26:27], v[3:4]
	v_fma_f64 v[42:43], v[40:41], v[26:27], -v[20:21]
	s_delay_alu instid0(VALU_DEP_4) | instskip(NEXT) | instid1(VALU_DEP_4)
	v_fma_f64 v[20:21], -v[40:41], v[24:25], v[22:23]
	v_fma_f64 v[22:23], v[28:29], v[24:25], v[30:31]
	s_delay_alu instid0(VALU_DEP_4) | instskip(NEXT) | instid1(VALU_DEP_4)
	v_fma_f64 v[26:27], v[40:41], v[24:25], v[3:4]
	v_fma_f64 v[28:29], v[28:29], v[24:25], v[42:43]
	ds_store_b128 v18, v[20:23] offset:8192
	ds_store_b128 v19, v[26:29] offset:40960
	ds_load_b128 v[20:23], v1
	ds_load_b128 v[24:27], v19 offset:36864
	global_load_b128 v[28:31], v[16:17], off offset:20480
	s_wait_dscnt 0x0
	v_add_f64_e32 v[3:4], v[20:21], v[24:25]
	v_add_f64_e32 v[16:17], v[26:27], v[22:23]
	v_add_f64_e64 v[40:41], v[20:21], -v[24:25]
	v_add_f64_e64 v[20:21], v[22:23], -v[26:27]
	s_wait_loadcnt 0x2
	s_delay_alu instid0(VALU_DEP_2) | instskip(NEXT) | instid1(VALU_DEP_2)
	v_fma_f64 v[22:23], v[40:41], v[38:39], v[3:4]
	v_fma_f64 v[24:25], v[16:17], v[38:39], v[20:21]
	v_fma_f64 v[3:4], -v[40:41], v[38:39], v[3:4]
	v_fma_f64 v[26:27], v[16:17], v[38:39], -v[20:21]
	s_delay_alu instid0(VALU_DEP_4) | instskip(NEXT) | instid1(VALU_DEP_4)
	v_fma_f64 v[20:21], -v[16:17], v[36:37], v[22:23]
	v_fma_f64 v[22:23], v[40:41], v[36:37], v[24:25]
	s_delay_alu instid0(VALU_DEP_4) | instskip(NEXT) | instid1(VALU_DEP_4)
	v_fma_f64 v[24:25], v[16:17], v[36:37], v[3:4]
	v_fma_f64 v[26:27], v[40:41], v[36:37], v[26:27]
	ds_store_b128 v1, v[20:23]
	ds_store_b128 v19, v[24:27] offset:36864
	ds_load_b128 v[20:23], v18 offset:16384
	ds_load_b128 v[24:27], v19 offset:32768
	s_wait_dscnt 0x0
	v_add_f64_e32 v[3:4], v[20:21], v[24:25]
	v_add_f64_e32 v[16:17], v[26:27], v[22:23]
	v_add_f64_e64 v[36:37], v[20:21], -v[24:25]
	v_add_f64_e64 v[20:21], v[22:23], -v[26:27]
	s_wait_loadcnt 0x1
	s_delay_alu instid0(VALU_DEP_2) | instskip(NEXT) | instid1(VALU_DEP_2)
	v_fma_f64 v[22:23], v[36:37], v[34:35], v[3:4]
	v_fma_f64 v[24:25], v[16:17], v[34:35], v[20:21]
	v_fma_f64 v[3:4], -v[36:37], v[34:35], v[3:4]
	v_fma_f64 v[26:27], v[16:17], v[34:35], -v[20:21]
	s_delay_alu instid0(VALU_DEP_4) | instskip(NEXT) | instid1(VALU_DEP_4)
	v_fma_f64 v[20:21], -v[16:17], v[32:33], v[22:23]
	v_fma_f64 v[22:23], v[36:37], v[32:33], v[24:25]
	s_delay_alu instid0(VALU_DEP_4) | instskip(NEXT) | instid1(VALU_DEP_4)
	v_fma_f64 v[24:25], v[16:17], v[32:33], v[3:4]
	v_fma_f64 v[26:27], v[36:37], v[32:33], v[26:27]
	ds_store_b128 v18, v[20:23] offset:16384
	ds_store_b128 v19, v[24:27] offset:32768
	ds_load_b128 v[20:23], v18 offset:20480
	ds_load_b128 v[24:27], v19 offset:28672
	s_wait_dscnt 0x0
	v_add_f64_e32 v[3:4], v[20:21], v[24:25]
	v_add_f64_e32 v[16:17], v[26:27], v[22:23]
	v_add_f64_e64 v[32:33], v[20:21], -v[24:25]
	v_add_f64_e64 v[20:21], v[22:23], -v[26:27]
	s_wait_loadcnt 0x0
	s_delay_alu instid0(VALU_DEP_2) | instskip(NEXT) | instid1(VALU_DEP_2)
	v_fma_f64 v[22:23], v[32:33], v[30:31], v[3:4]
	v_fma_f64 v[24:25], v[16:17], v[30:31], v[20:21]
	v_fma_f64 v[3:4], -v[32:33], v[30:31], v[3:4]
	v_fma_f64 v[26:27], v[16:17], v[30:31], -v[20:21]
	s_delay_alu instid0(VALU_DEP_4) | instskip(NEXT) | instid1(VALU_DEP_4)
	v_fma_f64 v[20:21], -v[16:17], v[28:29], v[22:23]
	v_fma_f64 v[22:23], v[32:33], v[28:29], v[24:25]
	s_delay_alu instid0(VALU_DEP_4) | instskip(NEXT) | instid1(VALU_DEP_4)
	v_fma_f64 v[24:25], v[16:17], v[28:29], v[3:4]
	v_fma_f64 v[26:27], v[32:33], v[28:29], v[26:27]
	ds_store_b128 v18, v[20:23] offset:20480
	ds_store_b128 v19, v[24:27] offset:28672
	global_wb scope:SCOPE_SE
	s_wait_dscnt 0x0
	s_barrier_signal -1
	s_barrier_wait -1
	global_inv scope:SCOPE_SE
	global_wb scope:SCOPE_SE
	s_barrier_signal -1
	s_barrier_wait -1
	global_inv scope:SCOPE_SE
	ds_load_b128 v[19:22], v18 offset:40960
	ds_load_b128 v[23:26], v18 offset:24576
	;; [unrolled: 1-line block ×10, first 2 shown]
	s_wait_dscnt 0x8
	v_add_f64_e32 v[3:4], v[25:26], v[21:22]
	v_add_f64_e32 v[59:60], v[23:24], v[19:20]
	s_wait_dscnt 0x6
	v_add_f64_e32 v[16:17], v[29:30], v[33:34]
	v_add_f64_e64 v[61:62], v[23:24], -v[19:20]
	v_add_f64_e32 v[63:64], v[27:28], v[31:32]
	v_add_f64_e64 v[67:68], v[27:28], -v[31:32]
	s_wait_dscnt 0x2
	v_add_f64_e32 v[69:70], v[47:48], v[43:44]
	v_add_f64_e32 v[71:72], v[49:50], v[45:46]
	v_add_f64_e64 v[73:74], v[25:26], -v[21:22]
	s_wait_dscnt 0x0
	v_add_f64_e32 v[79:80], v[51:52], v[55:56]
	v_add_f64_e32 v[81:82], v[53:54], v[57:58]
	v_add_f64_e64 v[83:84], v[29:30], -v[33:34]
	v_add_f64_e64 v[89:90], v[49:50], -v[45:46]
	v_add_f64_e32 v[23:24], v[35:36], v[23:24]
	v_add_f64_e32 v[25:26], v[37:38], v[25:26]
	;; [unrolled: 1-line block ×4, first 2 shown]
	v_fma_f64 v[3:4], v[3:4], -0.5, v[37:38]
	v_fma_f64 v[75:76], v[59:60], -0.5, v[35:36]
	;; [unrolled: 1-line block ×3, first 2 shown]
	v_add_f64_e64 v[37:38], v[53:54], -v[57:58]
	v_fma_f64 v[85:86], v[63:64], -0.5, v[39:40]
	ds_load_b128 v[63:66], v18 offset:4096
	v_add_f64_e32 v[21:22], v[25:26], v[21:22]
	s_wait_dscnt 0x0
	v_add_f64_e32 v[53:54], v[65:66], v[53:54]
	v_add_f64_e32 v[35:36], v[63:64], v[51:52]
	v_add_f64_e64 v[51:52], v[51:52], -v[55:56]
	v_fma_f64 v[63:64], v[79:80], -0.5, v[63:64]
	v_fma_f64 v[65:66], v[81:82], -0.5, v[65:66]
	s_wait_alu 0xfffe
	v_fma_f64 v[77:78], v[61:62], s[4:5], v[3:4]
	v_fma_f64 v[3:4], v[61:62], s[0:1], v[3:4]
	v_fma_f64 v[87:88], v[67:68], s[4:5], v[16:17]
	v_fma_f64 v[16:17], v[67:68], s[0:1], v[16:17]
	ds_load_b128 v[59:62], v18
	global_wb scope:SCOPE_SE
	s_wait_dscnt 0x0
	s_barrier_signal -1
	s_barrier_wait -1
	global_inv scope:SCOPE_SE
	v_add_f64_e32 v[67:68], v[59:60], v[47:48]
	v_add_f64_e32 v[49:50], v[61:62], v[49:50]
	v_add_f64_e64 v[47:48], v[47:48], -v[43:44]
	v_fma_f64 v[39:40], v[69:70], -0.5, v[59:60]
	v_fma_f64 v[41:42], v[71:72], -0.5, v[61:62]
	v_fma_f64 v[59:60], v[73:74], s[0:1], v[75:76]
	v_fma_f64 v[61:62], v[73:74], s[4:5], v[75:76]
	;; [unrolled: 1-line block ×3, first 2 shown]
	v_add_f64_e32 v[53:54], v[53:54], v[57:58]
	v_add_f64_e32 v[57:58], v[29:30], v[33:34]
	;; [unrolled: 1-line block ×4, first 2 shown]
	v_fma_f64 v[91:92], v[51:52], s[4:5], v[65:66]
	v_fma_f64 v[93:94], v[51:52], s[0:1], v[65:66]
	v_mul_f64_e32 v[69:70], s[0:1], v[77:78]
	v_mul_f64_e32 v[73:74], 0.5, v[77:78]
	v_mul_f64_e32 v[71:72], s[0:1], v[3:4]
	v_mul_f64_e32 v[3:4], -0.5, v[3:4]
	v_fma_f64 v[77:78], v[83:84], s[4:5], v[85:86]
	v_mul_f64_e32 v[79:80], s[0:1], v[87:88]
	v_mul_f64_e32 v[83:84], 0.5, v[87:88]
	v_mul_f64_e32 v[81:82], s[0:1], v[16:17]
	v_mul_f64_e32 v[16:17], -0.5, v[16:17]
	v_add_f64_e32 v[43:44], v[67:68], v[43:44]
	v_add_f64_e32 v[45:46], v[49:50], v[45:46]
	;; [unrolled: 1-line block ×3, first 2 shown]
	v_fma_f64 v[67:68], v[89:90], s[0:1], v[39:40]
	v_fma_f64 v[85:86], v[89:90], s[4:5], v[39:40]
	;; [unrolled: 1-line block ×4, first 2 shown]
	v_add_f64_e32 v[33:34], v[53:54], v[57:58]
	v_add_f64_e32 v[31:32], v[35:36], v[55:56]
	v_add_f64_e64 v[35:36], v[35:36], -v[55:56]
	v_fma_f64 v[47:48], v[59:60], 0.5, v[69:70]
	v_fma_f64 v[59:60], v[59:60], s[4:5], v[73:74]
	v_fma_f64 v[69:70], v[61:62], -0.5, v[71:72]
	v_fma_f64 v[3:4], v[61:62], s[4:5], v[3:4]
	v_fma_f64 v[71:72], v[37:38], s[0:1], v[63:64]
	;; [unrolled: 1-line block ×3, first 2 shown]
	v_fma_f64 v[63:64], v[75:76], 0.5, v[79:80]
	v_fma_f64 v[75:76], v[75:76], s[4:5], v[83:84]
	v_fma_f64 v[65:66], v[77:78], -0.5, v[81:82]
	v_fma_f64 v[77:78], v[77:78], s[4:5], v[16:17]
	v_mul_lo_u16 v16, 0xab, v0
	v_add_f64_e64 v[37:38], v[53:54], -v[57:58]
	s_delay_alu instid0(VALU_DEP_2)
	v_lshrrev_b16 v20, 10, v16
	v_add_f64_e32 v[25:26], v[45:46], v[21:22]
	v_add_f64_e32 v[23:24], v[43:44], v[49:50]
	v_add_f64_e64 v[27:28], v[43:44], -v[49:50]
	v_add_f64_e64 v[29:30], v[45:46], -v[21:22]
	v_add_f64_e32 v[39:40], v[67:68], v[47:48]
	v_add_f64_e32 v[41:42], v[87:88], v[59:60]
	v_add_f64_e32 v[43:44], v[85:86], v[69:70]
	v_add_f64_e32 v[45:46], v[89:90], v[3:4]
	v_add_f64_e64 v[47:48], v[67:68], -v[47:48]
	v_add_f64_e64 v[49:50], v[87:88], -v[59:60]
	;; [unrolled: 1-line block ×4, first 2 shown]
	v_add_f64_e32 v[55:56], v[71:72], v[63:64]
	v_add_f64_e32 v[57:58], v[91:92], v[75:76]
	;; [unrolled: 1-line block ×4, first 2 shown]
	v_add_f64_e64 v[63:64], v[71:72], -v[63:64]
	v_add_f64_e64 v[67:68], v[73:74], -v[65:66]
	;; [unrolled: 1-line block ×4, first 2 shown]
	v_mul_lo_u16 v3, v20, 6
	v_mad_u32_u24 v4, 0x50, v9, v18
	ds_store_b128 v4, v[23:26]
	ds_store_b128 v4, v[39:42] offset:16
	ds_store_b128 v4, v[43:46] offset:32
	;; [unrolled: 1-line block ×11, first 2 shown]
	v_sub_nc_u16 v3, v0, v3
	global_wb scope:SCOPE_SE
	s_wait_dscnt 0x0
	s_barrier_signal -1
	s_barrier_wait -1
	global_inv scope:SCOPE_SE
	v_and_b32_e32 v22, 0xff, v3
	v_and_b32_e32 v20, 0xffff, v20
	s_delay_alu instid0(VALU_DEP_2) | instskip(NEXT) | instid1(VALU_DEP_1)
	v_mul_u32_u24_e32 v3, 3, v22
	v_lshlrev_b32_e32 v19, 4, v3
	v_or_b32_e32 v3, 0x100, v9
	s_clause 0x1
	global_load_b128 v[23:26], v19, s[8:9]
	global_load_b128 v[27:30], v19, s[8:9] offset:16
	v_and_b32_e32 v4, 0xffff, v3
	global_load_b128 v[31:34], v19, s[8:9] offset:32
	v_cmp_gt_u32_e64 s0, 0x180, v3
	v_mul_u32_u24_e32 v17, 0xaaab, v4
	s_delay_alu instid0(VALU_DEP_1) | instskip(NEXT) | instid1(VALU_DEP_1)
	v_lshrrev_b32_e32 v89, 18, v17
	v_mul_lo_u16 v4, v89, 6
	s_delay_alu instid0(VALU_DEP_1) | instskip(NEXT) | instid1(VALU_DEP_1)
	v_sub_nc_u16 v90, v3, v4
	v_mul_lo_u16 v4, v90, 3
	s_delay_alu instid0(VALU_DEP_1) | instskip(NEXT) | instid1(VALU_DEP_1)
	v_and_b32_e32 v4, 0xffff, v4
	v_lshlrev_b32_e32 v21, 4, v4
	v_or_b32_e32 v4, 0x200, v9
	global_load_b128 v[35:38], v21, s[8:9]
	v_and_b32_e32 v19, 0xffff, v4
	s_clause 0x1
	global_load_b128 v[39:42], v21, s[8:9] offset:16
	global_load_b128 v[43:46], v21, s[8:9] offset:32
	v_mul_u32_u24_e32 v19, 0xaaab, v19
	s_delay_alu instid0(VALU_DEP_1) | instskip(NEXT) | instid1(VALU_DEP_1)
	v_lshrrev_b32_e32 v91, 18, v19
	v_mul_lo_u16 v21, v91, 6
	s_delay_alu instid0(VALU_DEP_1) | instskip(NEXT) | instid1(VALU_DEP_1)
	v_sub_nc_u16 v92, v4, v21
	v_mul_lo_u16 v21, v92, 3
	s_delay_alu instid0(VALU_DEP_1) | instskip(NEXT) | instid1(VALU_DEP_1)
	v_and_b32_e32 v21, 0xffff, v21
	v_lshlrev_b32_e32 v21, 4, v21
	s_clause 0x2
	global_load_b128 v[47:50], v21, s[8:9]
	global_load_b128 v[51:54], v21, s[8:9] offset:16
	global_load_b128 v[55:58], v21, s[8:9] offset:32
	ds_load_b128 v[59:62], v1
	ds_load_b128 v[63:66], v18 offset:28672
	ds_load_b128 v[67:70], v18 offset:24576
	ds_load_b128 v[71:74], v18 offset:20480
	ds_load_b128 v[75:78], v18 offset:36864
	ds_load_b128 v[79:82], v18 offset:32768
	v_lshrrev_b16 v21, 12, v16
	s_wait_loadcnt_dscnt 0x805
	v_mul_f64_e32 v[83:84], v[61:62], v[25:26]
	v_mul_f64_e32 v[25:26], v[59:60], v[25:26]
	s_wait_loadcnt_dscnt 0x703
	v_mul_f64_e32 v[85:86], v[69:70], v[29:30]
	v_mul_f64_e32 v[29:30], v[67:68], v[29:30]
	s_delay_alu instid0(VALU_DEP_4) | instskip(NEXT) | instid1(VALU_DEP_4)
	v_fma_f64 v[59:60], v[59:60], v[23:24], v[83:84]
	v_fma_f64 v[61:62], v[61:62], v[23:24], -v[25:26]
	ds_load_b128 v[23:26], v18 offset:16384
	s_wait_loadcnt_dscnt 0x602
	v_mul_f64_e32 v[83:84], v[77:78], v[33:34]
	v_mul_f64_e32 v[33:34], v[75:76], v[33:34]
	v_fma_f64 v[67:68], v[67:68], v[27:28], v[85:86]
	v_fma_f64 v[69:70], v[69:70], v[27:28], -v[29:30]
	ds_load_b128 v[27:30], v18 offset:8192
	s_wait_loadcnt_dscnt 0x501
	v_mul_f64_e32 v[85:86], v[25:26], v[37:38]
	v_mul_f64_e32 v[37:38], v[23:24], v[37:38]
	v_fma_f64 v[75:76], v[75:76], v[31:32], v[83:84]
	v_fma_f64 v[77:78], v[77:78], v[31:32], -v[33:34]
	ds_load_b128 v[31:34], v18 offset:40960
	s_wait_loadcnt 0x4
	v_mul_f64_e32 v[83:84], v[65:66], v[41:42]
	v_mul_f64_e32 v[41:42], v[63:64], v[41:42]
	s_wait_loadcnt 0x2
	v_mul_f64_e32 v[87:88], v[73:74], v[49:50]
	v_fma_f64 v[85:86], v[23:24], v[35:36], v[85:86]
	v_fma_f64 v[35:36], v[25:26], v[35:36], -v[37:38]
	ds_load_b128 v[23:26], v18 offset:45056
	s_wait_dscnt 0x1
	v_mul_f64_e32 v[37:38], v[33:34], v[45:46]
	v_mul_f64_e32 v[45:46], v[31:32], v[45:46]
	v_fma_f64 v[63:64], v[63:64], v[39:40], v[83:84]
	v_fma_f64 v[39:40], v[65:66], v[39:40], -v[41:42]
	v_mul_f64_e32 v[41:42], v[71:72], v[49:50]
	s_wait_loadcnt 0x1
	v_mul_f64_e32 v[49:50], v[81:82], v[53:54]
	v_mul_f64_e32 v[53:54], v[79:80], v[53:54]
	s_wait_loadcnt_dscnt 0x0
	v_mul_f64_e32 v[65:66], v[25:26], v[57:58]
	v_fma_f64 v[37:38], v[31:32], v[43:44], v[37:38]
	v_mul_f64_e32 v[31:32], v[23:24], v[57:58]
	v_fma_f64 v[43:44], v[33:34], v[43:44], -v[45:46]
	v_fma_f64 v[45:46], v[71:72], v[47:48], v[87:88]
	v_lshrrev_b32_e32 v88, 20, v17
	v_fma_f64 v[41:42], v[73:74], v[47:48], -v[41:42]
	v_fma_f64 v[47:48], v[79:80], v[51:52], v[49:50]
	v_fma_f64 v[49:50], v[81:82], v[51:52], -v[53:54]
	v_fma_f64 v[51:52], v[23:24], v[55:56], v[65:66]
	v_add_f64_e64 v[65:66], v[59:60], -v[75:76]
	v_fma_f64 v[53:54], v[25:26], v[55:56], -v[31:32]
	ds_load_b128 v[23:26], v18
	ds_load_b128 v[31:34], v18 offset:4096
	global_wb scope:SCOPE_SE
	s_wait_dscnt 0x0
	s_barrier_signal -1
	s_barrier_wait -1
	global_inv scope:SCOPE_SE
	v_add_f64_e64 v[55:56], v[23:24], -v[67:68]
	v_add_f64_e64 v[57:58], v[25:26], -v[69:70]
	;; [unrolled: 1-line block ×10, first 2 shown]
	v_fma_f64 v[49:50], v[59:60], 2.0, -v[65:66]
	v_add_f64_e64 v[43:44], v[41:42], -v[53:54]
	v_fma_f64 v[53:54], v[23:24], 2.0, -v[55:56]
	v_fma_f64 v[75:76], v[25:26], 2.0, -v[57:58]
	v_fma_f64 v[51:52], v[61:62], 2.0, -v[67:68]
	v_fma_f64 v[59:60], v[31:32], 2.0, -v[63:64]
	v_fma_f64 v[61:62], v[33:34], 2.0, -v[69:70]
	v_fma_f64 v[77:78], v[85:86], 2.0, -v[39:40]
	v_fma_f64 v[79:80], v[35:36], 2.0, -v[37:38]
	v_fma_f64 v[81:82], v[27:28], 2.0, -v[71:72]
	v_fma_f64 v[83:84], v[29:30], 2.0, -v[73:74]
	v_fma_f64 v[45:46], v[45:46], 2.0, -v[47:48]
	v_add_f64_e32 v[23:24], v[55:56], v[67:68]
	v_add_f64_e64 v[25:26], v[57:58], -v[65:66]
	v_add_f64_e32 v[27:28], v[63:64], v[37:38]
	v_add_f64_e64 v[29:30], v[69:70], -v[39:40]
	v_fma_f64 v[41:42], v[41:42], 2.0, -v[43:44]
	v_add_f64_e32 v[39:40], v[71:72], v[43:44]
	v_add_f64_e64 v[31:32], v[53:54], -v[49:50]
	v_add_f64_e64 v[33:34], v[75:76], -v[51:52]
	;; [unrolled: 1-line block ×5, first 2 shown]
	v_fma_f64 v[49:50], v[57:58], 2.0, -v[25:26]
	v_fma_f64 v[51:52], v[63:64], 2.0, -v[27:28]
	v_add_f64_e64 v[45:46], v[83:84], -v[41:42]
	v_add_f64_e64 v[41:42], v[73:74], -v[47:48]
	v_fma_f64 v[47:48], v[55:56], 2.0, -v[23:24]
	v_fma_f64 v[63:64], v[71:72], 2.0, -v[39:40]
	v_mul_lo_u16 v71, v21, 24
	v_mul_lo_u16 v72, v89, 24
	v_and_b32_e32 v21, 0xffff, v21
	s_delay_alu instid0(VALU_DEP_3) | instskip(NEXT) | instid1(VALU_DEP_2)
	v_sub_nc_u16 v71, v0, v71
	v_mul_u32_u24_e32 v21, 0x60, v21
	v_fma_f64 v[55:56], v[53:54], 2.0, -v[31:32]
	v_fma_f64 v[53:54], v[69:70], 2.0, -v[29:30]
	;; [unrolled: 1-line block ×8, first 2 shown]
	v_mul_lo_u16 v73, v91, 24
	v_mul_u32_u24_e32 v74, 24, v20
	v_and_b32_e32 v20, 0xff, v71
	v_or_b32_e32 v71, v72, v90
	v_lshrrev_b32_e32 v90, 20, v19
	v_or_b32_e32 v72, v73, v92
	v_or_b32_e32 v22, v74, v22
	v_mul_u32_u24_e32 v73, 3, v20
	v_and_b32_e32 v71, 0xffff, v71
	v_lshrrev_b16 v92, 14, v16
	v_and_b32_e32 v72, 0xffff, v72
	v_lshl_add_u32 v22, v22, 4, 0
	v_lshlrev_b32_e32 v73, 4, v73
	v_lshl_add_u32 v71, v71, 4, 0
	v_mul_lo_u16 v16, 0x60, v92
	v_lshl_add_u32 v72, v72, 4, 0
	ds_store_b128 v22, v[31:34] offset:192
	ds_store_b128 v22, v[23:26] offset:288
	ds_store_b128 v22, v[55:58]
	ds_store_b128 v22, v[47:50] offset:96
	ds_store_b128 v71, v[59:62]
	ds_store_b128 v71, v[51:54] offset:96
	ds_store_b128 v71, v[35:38] offset:192
	;; [unrolled: 1-line block ×3, first 2 shown]
	ds_store_b128 v72, v[67:70]
	ds_store_b128 v72, v[63:66] offset:96
	ds_store_b128 v72, v[43:46] offset:192
	;; [unrolled: 1-line block ×3, first 2 shown]
	global_wb scope:SCOPE_SE
	s_wait_dscnt 0x0
	s_barrier_signal -1
	s_barrier_wait -1
	global_inv scope:SCOPE_SE
	s_clause 0x1
	global_load_b128 v[22:25], v73, s[8:9] offset:288
	global_load_b128 v[26:29], v73, s[8:9] offset:304
	v_mul_lo_u16 v30, v88, 24
	v_mul_lo_u16 v46, v90, 24
	v_sub_nc_u16 v0, v0, v16
	v_mul_lo_u16 v16, 0x60, v88
	v_or_b32_e32 v20, v21, v20
	v_sub_nc_u16 v89, v3, v30
	global_load_b128 v[30:33], v73, s[8:9] offset:320
	v_sub_nc_u16 v91, v4, v46
	v_and_b32_e32 v0, 0xff, v0
	v_lshl_add_u32 v20, v20, 4, 0
	v_mul_lo_u16 v34, v89, 3
	v_or_b32_e32 v16, v16, v89
	v_mul_lo_u16 v46, v91, 3
	v_mul_u32_u24_e32 v21, 3, v0
	v_lshrrev_b32_e32 v88, 22, v17
	v_and_b32_e32 v34, 0xffff, v34
	v_and_b32_e32 v16, 0xffff, v16
	;; [unrolled: 1-line block ×3, first 2 shown]
	s_delay_alu instid0(VALU_DEP_3)
	v_lshlrev_b32_e32 v42, 4, v34
	s_clause 0x2
	global_load_b128 v[34:37], v42, s[8:9] offset:288
	global_load_b128 v[38:41], v42, s[8:9] offset:304
	;; [unrolled: 1-line block ×3, first 2 shown]
	v_lshlrev_b32_e32 v54, 4, v46
	s_clause 0x2
	global_load_b128 v[46:49], v54, s[8:9] offset:288
	global_load_b128 v[50:53], v54, s[8:9] offset:304
	;; [unrolled: 1-line block ×3, first 2 shown]
	ds_load_b128 v[58:61], v1
	ds_load_b128 v[62:65], v18 offset:28672
	ds_load_b128 v[66:69], v18 offset:24576
	;; [unrolled: 1-line block ×5, first 2 shown]
	v_lshl_add_u32 v16, v16, 4, 0
	s_wait_loadcnt_dscnt 0x805
	v_mul_f64_e32 v[82:83], v[60:61], v[24:25]
	v_mul_f64_e32 v[24:25], v[58:59], v[24:25]
	s_wait_loadcnt_dscnt 0x703
	v_mul_f64_e32 v[84:85], v[68:69], v[28:29]
	v_mul_f64_e32 v[28:29], v[66:67], v[28:29]
	s_wait_loadcnt_dscnt 0x202
	v_mul_f64_e32 v[86:87], v[72:73], v[48:49]
	v_fma_f64 v[58:59], v[58:59], v[22:23], v[82:83]
	v_fma_f64 v[60:61], v[60:61], v[22:23], -v[24:25]
	ds_load_b128 v[22:25], v18 offset:16384
	s_wait_dscnt 0x2
	v_mul_f64_e32 v[82:83], v[76:77], v[32:33]
	v_mul_f64_e32 v[32:33], v[74:75], v[32:33]
	v_fma_f64 v[66:67], v[66:67], v[26:27], v[84:85]
	v_fma_f64 v[68:69], v[68:69], v[26:27], -v[28:29]
	ds_load_b128 v[26:29], v18 offset:8192
	s_wait_dscnt 0x1
	v_mul_f64_e32 v[84:85], v[24:25], v[36:37]
	v_mul_f64_e32 v[36:37], v[22:23], v[36:37]
	v_fma_f64 v[74:75], v[74:75], v[30:31], v[82:83]
	v_fma_f64 v[76:77], v[76:77], v[30:31], -v[32:33]
	ds_load_b128 v[30:33], v18 offset:40960
	v_mul_f64_e32 v[82:83], v[64:65], v[40:41]
	v_mul_f64_e32 v[40:41], v[62:63], v[40:41]
	v_fma_f64 v[84:85], v[22:23], v[34:35], v[84:85]
	v_fma_f64 v[34:35], v[24:25], v[34:35], -v[36:37]
	ds_load_b128 v[22:25], v18 offset:45056
	s_wait_dscnt 0x1
	v_mul_f64_e32 v[36:37], v[32:33], v[44:45]
	v_mul_f64_e32 v[44:45], v[30:31], v[44:45]
	v_fma_f64 v[62:63], v[62:63], v[38:39], v[82:83]
	v_fma_f64 v[38:39], v[64:65], v[38:39], -v[40:41]
	v_mul_f64_e32 v[40:41], v[70:71], v[48:49]
	s_wait_loadcnt 0x1
	v_mul_f64_e32 v[48:49], v[80:81], v[52:53]
	v_mul_f64_e32 v[52:53], v[78:79], v[52:53]
	s_wait_loadcnt_dscnt 0x0
	v_mul_f64_e32 v[64:65], v[24:25], v[56:57]
	v_fma_f64 v[36:37], v[30:31], v[42:43], v[36:37]
	v_mul_f64_e32 v[30:31], v[22:23], v[56:57]
	v_fma_f64 v[42:43], v[32:33], v[42:43], -v[44:45]
	v_fma_f64 v[44:45], v[70:71], v[46:47], v[86:87]
	v_fma_f64 v[40:41], v[72:73], v[46:47], -v[40:41]
	v_fma_f64 v[46:47], v[78:79], v[50:51], v[48:49]
	;; [unrolled: 2-line block ×3, first 2 shown]
	v_add_f64_e64 v[64:65], v[58:59], -v[74:75]
	v_fma_f64 v[52:53], v[24:25], v[54:55], -v[30:31]
	ds_load_b128 v[22:25], v18
	ds_load_b128 v[30:33], v18 offset:4096
	global_wb scope:SCOPE_SE
	s_wait_dscnt 0x0
	s_barrier_signal -1
	s_barrier_wait -1
	global_inv scope:SCOPE_SE
	v_add_f64_e64 v[54:55], v[22:23], -v[66:67]
	v_add_f64_e64 v[56:57], v[24:25], -v[68:69]
	;; [unrolled: 1-line block ×10, first 2 shown]
	v_fma_f64 v[48:49], v[58:59], 2.0, -v[64:65]
	v_add_f64_e64 v[42:43], v[40:41], -v[52:53]
	v_fma_f64 v[52:53], v[22:23], 2.0, -v[54:55]
	v_fma_f64 v[74:75], v[24:25], 2.0, -v[56:57]
	;; [unrolled: 1-line block ×10, first 2 shown]
	v_add_f64_e32 v[22:23], v[54:55], v[66:67]
	v_add_f64_e64 v[24:25], v[56:57], -v[64:65]
	v_add_f64_e32 v[26:27], v[62:63], v[36:37]
	v_add_f64_e64 v[28:29], v[68:69], -v[38:39]
	v_fma_f64 v[40:41], v[40:41], 2.0, -v[42:43]
	v_add_f64_e32 v[38:39], v[70:71], v[42:43]
	v_add_f64_e64 v[30:31], v[52:53], -v[48:49]
	v_add_f64_e64 v[32:33], v[74:75], -v[50:51]
	;; [unrolled: 1-line block ×5, first 2 shown]
	v_fma_f64 v[48:49], v[56:57], 2.0, -v[24:25]
	v_fma_f64 v[50:51], v[62:63], 2.0, -v[26:27]
	v_add_f64_e64 v[44:45], v[82:83], -v[40:41]
	v_add_f64_e64 v[40:41], v[72:73], -v[46:47]
	v_fma_f64 v[46:47], v[54:55], 2.0, -v[22:23]
	v_fma_f64 v[62:63], v[70:71], 2.0, -v[38:39]
	v_mul_lo_u16 v70, 0x60, v90
	v_lshlrev_b32_e32 v71, 4, v21
	v_lshrrev_b32_e32 v90, 22, v19
	s_delay_alu instid0(VALU_DEP_3) | instskip(NEXT) | instid1(VALU_DEP_2)
	v_or_b32_e32 v70, v70, v91
	v_mul_lo_u16 v17, 0x60, v90
	s_delay_alu instid0(VALU_DEP_2) | instskip(NEXT) | instid1(VALU_DEP_2)
	v_and_b32_e32 v70, 0xffff, v70
	v_sub_nc_u16 v4, v4, v17
	s_delay_alu instid0(VALU_DEP_2)
	v_lshl_add_u32 v21, v70, 4, 0
	v_fma_f64 v[54:55], v[52:53], 2.0, -v[30:31]
	v_fma_f64 v[52:53], v[68:69], 2.0, -v[28:29]
	;; [unrolled: 1-line block ×3, first 2 shown]
	v_mul_lo_u16 v17, v4, 3
	v_fma_f64 v[58:59], v[58:59], 2.0, -v[34:35]
	v_fma_f64 v[60:61], v[60:61], 2.0, -v[36:37]
	s_delay_alu instid0(VALU_DEP_3) | instskip(SKIP_1) | instid1(VALU_DEP_2)
	v_and_b32_e32 v17, 0xffff, v17
	v_fma_f64 v[66:67], v[80:81], 2.0, -v[42:43]
	v_lshlrev_b32_e32 v17, 4, v17
	v_fma_f64 v[68:69], v[82:83], 2.0, -v[44:45]
	v_fma_f64 v[64:65], v[72:73], 2.0, -v[40:41]
	ds_store_b128 v20, v[30:33] offset:768
	ds_store_b128 v20, v[22:25] offset:1152
	ds_store_b128 v20, v[54:57]
	ds_store_b128 v20, v[46:49] offset:384
	ds_store_b128 v16, v[58:61]
	ds_store_b128 v16, v[50:53] offset:384
	ds_store_b128 v16, v[34:37] offset:768
	;; [unrolled: 1-line block ×3, first 2 shown]
	ds_store_b128 v21, v[66:69]
	ds_store_b128 v21, v[62:65] offset:384
	ds_store_b128 v21, v[42:45] offset:768
	;; [unrolled: 1-line block ×3, first 2 shown]
	global_wb scope:SCOPE_SE
	s_wait_dscnt 0x0
	s_barrier_signal -1
	s_barrier_wait -1
	global_inv scope:SCOPE_SE
	s_clause 0x1
	global_load_b128 v[20:23], v71, s[8:9] offset:1440
	global_load_b128 v[24:27], v71, s[8:9] offset:1456
	v_mul_lo_u16 v16, 0x60, v88
	global_load_b128 v[28:31], v71, s[8:9] offset:1472
	v_sub_nc_u16 v89, v3, v16
	s_delay_alu instid0(VALU_DEP_1) | instskip(NEXT) | instid1(VALU_DEP_1)
	v_mul_lo_u16 v16, v89, 3
	v_and_b32_e32 v16, 0xffff, v16
	s_delay_alu instid0(VALU_DEP_1)
	v_lshlrev_b32_e32 v16, 4, v16
	s_clause 0x5
	global_load_b128 v[32:35], v16, s[8:9] offset:1440
	global_load_b128 v[36:39], v16, s[8:9] offset:1456
	;; [unrolled: 1-line block ×6, first 2 shown]
	ds_load_b128 v[56:59], v1
	ds_load_b128 v[60:63], v18 offset:24576
	ds_load_b128 v[64:67], v18 offset:28672
	;; [unrolled: 1-line block ×6, first 2 shown]
	s_wait_loadcnt_dscnt 0x806
	v_mul_f64_e32 v[16:17], v[58:59], v[22:23]
	v_mul_f64_e32 v[22:23], v[56:57], v[22:23]
	s_wait_loadcnt_dscnt 0x705
	v_mul_f64_e32 v[84:85], v[62:63], v[26:27]
	v_mul_f64_e32 v[26:27], v[60:61], v[26:27]
	;; [unrolled: 3-line block ×3, first 2 shown]
	v_fma_f64 v[16:17], v[56:57], v[20:21], v[16:17]
	v_fma_f64 v[56:57], v[58:59], v[20:21], -v[22:23]
	s_wait_loadcnt_dscnt 0x501
	v_mul_f64_e32 v[58:59], v[78:79], v[34:35]
	v_mul_f64_e32 v[34:35], v[76:77], v[34:35]
	v_fma_f64 v[60:61], v[60:61], v[24:25], v[84:85]
	s_wait_loadcnt 0x4
	v_mul_f64_e32 v[84:85], v[66:67], v[38:39]
	v_mul_f64_e32 v[38:39], v[64:65], v[38:39]
	v_fma_f64 v[62:63], v[62:63], v[24:25], -v[26:27]
	ds_load_b128 v[23:26], v18 offset:40960
	v_fma_f64 v[72:73], v[72:73], v[28:29], v[86:87]
	v_fma_f64 v[74:75], v[74:75], v[28:29], -v[30:31]
	ds_load_b128 v[27:30], v18 offset:45056
	ds_load_b128 v[19:22], v18 offset:8192
	s_wait_loadcnt_dscnt 0x302
	v_mul_f64_e32 v[86:87], v[25:26], v[42:43]
	v_mul_f64_e32 v[42:43], v[23:24], v[42:43]
	v_fma_f64 v[58:59], v[76:77], v[32:33], v[58:59]
	v_fma_f64 v[31:32], v[78:79], v[32:33], -v[34:35]
	s_wait_loadcnt 0x2
	v_mul_f64_e32 v[33:34], v[70:71], v[46:47]
	v_mul_f64_e32 v[46:47], v[68:69], v[46:47]
	s_wait_loadcnt 0x1
	v_mul_f64_e32 v[76:77], v[82:83], v[50:51]
	v_mul_f64_e32 v[50:51], v[80:81], v[50:51]
	v_fma_f64 v[64:65], v[64:65], v[36:37], v[84:85]
	v_fma_f64 v[35:36], v[66:67], v[36:37], -v[38:39]
	s_wait_loadcnt_dscnt 0x1
	v_mul_f64_e32 v[37:38], v[29:30], v[54:55]
	v_mul_f64_e32 v[54:55], v[27:28], v[54:55]
	v_fma_f64 v[66:67], v[23:24], v[40:41], v[86:87]
	v_fma_f64 v[39:40], v[25:26], v[40:41], -v[42:43]
	v_fma_f64 v[33:34], v[68:69], v[44:45], v[33:34]
	v_fma_f64 v[41:42], v[70:71], v[44:45], -v[46:47]
	;; [unrolled: 2-line block ×4, first 2 shown]
	ds_load_b128 v[23:26], v18
	ds_load_b128 v[27:30], v18 offset:4096
	v_add_f64_e64 v[53:54], v[16:17], -v[72:73]
	global_wb scope:SCOPE_SE
	s_wait_dscnt 0x0
	s_barrier_signal -1
	s_barrier_wait -1
	global_inv scope:SCOPE_SE
	v_add_f64_e64 v[39:40], v[31:32], -v[39:40]
	v_add_f64_e64 v[49:50], v[23:24], -v[60:61]
	;; [unrolled: 1-line block ×11, first 2 shown]
	v_fma_f64 v[16:17], v[16:17], 2.0, -v[53:54]
	v_fma_f64 v[47:48], v[31:32], 2.0, -v[39:40]
	;; [unrolled: 1-line block ×8, first 2 shown]
	v_add_f64_e32 v[23:24], v[62:63], v[39:40]
	v_fma_f64 v[76:77], v[19:20], 2.0, -v[66:67]
	v_fma_f64 v[78:79], v[21:22], 2.0, -v[68:69]
	v_add_f64_e64 v[21:22], v[51:52], -v[53:54]
	v_add_f64_e32 v[19:20], v[49:50], v[60:61]
	v_fma_f64 v[57:58], v[33:34], 2.0, -v[37:38]
	v_fma_f64 v[41:42], v[41:42], 2.0, -v[43:44]
	v_add_f64_e64 v[37:38], v[68:69], -v[37:38]
	v_add_f64_e64 v[27:28], v[70:71], -v[16:17]
	v_and_b32_e32 v16, 0xffff, v92
	v_add_f64_e64 v[29:30], v[72:73], -v[25:26]
	v_add_f64_e64 v[25:26], v[64:65], -v[35:36]
	v_add_f64_e64 v[33:34], v[74:75], -v[47:48]
	v_add_f64_e64 v[31:32], v[55:56], -v[45:46]
	v_add_f64_e32 v[35:36], v[66:67], v[43:44]
	v_fma_f64 v[47:48], v[62:63], 2.0, -v[23:24]
	v_mul_lo_u16 v17, 0x180, v88
	v_mul_u32_u24_e32 v16, 0x180, v16
	s_delay_alu instid0(VALU_DEP_2) | instskip(NEXT) | instid1(VALU_DEP_2)
	v_or_b32_e32 v17, v17, v89
	v_or_b32_e32 v0, v16, v0
	v_fma_f64 v[45:46], v[51:52], 2.0, -v[21:22]
	v_fma_f64 v[43:44], v[49:50], 2.0, -v[19:20]
	v_add_f64_e64 v[39:40], v[76:77], -v[57:58]
	v_add_f64_e64 v[41:42], v[78:79], -v[41:42]
	v_fma_f64 v[61:62], v[68:69], 2.0, -v[37:38]
	v_and_b32_e32 v16, 0xffff, v17
	v_lshl_add_u32 v0, v0, 4, 0
	s_delay_alu instid0(VALU_DEP_2)
	v_lshl_add_u32 v16, v16, 4, 0
	v_fma_f64 v[51:52], v[70:71], 2.0, -v[27:28]
	v_fma_f64 v[53:54], v[72:73], 2.0, -v[29:30]
	;; [unrolled: 1-line block ×6, first 2 shown]
	v_mul_lo_u16 v67, 0x180, v90
	s_delay_alu instid0(VALU_DEP_1) | instskip(SKIP_3) | instid1(VALU_DEP_4)
	v_or_b32_e32 v4, v67, v4
	v_mul_u32_u24_e32 v67, 3, v9
	v_fma_f64 v[63:64], v[76:77], 2.0, -v[39:40]
	v_fma_f64 v[65:66], v[78:79], 2.0, -v[41:42]
	v_and_b32_e32 v4, 0xffff, v4
	s_delay_alu instid0(VALU_DEP_4) | instskip(NEXT) | instid1(VALU_DEP_2)
	v_lshlrev_b32_e32 v67, 4, v67
	v_lshl_add_u32 v4, v4, 4, 0
	ds_store_b128 v0, v[27:30] offset:3072
	ds_store_b128 v0, v[19:22] offset:4608
	ds_store_b128 v0, v[51:54]
	ds_store_b128 v0, v[43:46] offset:1536
	ds_store_b128 v16, v[55:58]
	ds_store_b128 v16, v[47:50] offset:1536
	ds_store_b128 v16, v[31:34] offset:3072
	;; [unrolled: 1-line block ×3, first 2 shown]
	ds_store_b128 v4, v[63:66]
	ds_store_b128 v4, v[59:62] offset:1536
	ds_store_b128 v4, v[39:42] offset:3072
	;; [unrolled: 1-line block ×3, first 2 shown]
	global_wb scope:SCOPE_SE
	s_wait_dscnt 0x0
	s_barrier_signal -1
	s_barrier_wait -1
	global_inv scope:SCOPE_SE
	s_clause 0x1
	global_load_b128 v[19:22], v67, s[8:9] offset:6048
	global_load_b128 v[23:26], v67, s[8:9] offset:6064
	v_add_nc_u32_e32 v0, 0xffffff80, v9
	global_load_b128 v[27:30], v67, s[8:9] offset:6080
	s_wait_alu 0xf1ff
	v_cndmask_b32_e64 v0, v0, v3, s0
	s_delay_alu instid0(VALU_DEP_1) | instskip(NEXT) | instid1(VALU_DEP_1)
	v_mul_i32_i24_e32 v9, 3, v0
	v_lshlrev_b64_e32 v[16:17], 4, v[9:10]
	s_delay_alu instid0(VALU_DEP_1) | instskip(SKIP_1) | instid1(VALU_DEP_2)
	v_add_co_u32 v16, s0, s8, v16
	s_wait_alu 0xf1ff
	v_add_co_ci_u32_e64 v17, s0, s9, v17, s0
	s_clause 0x5
	global_load_b128 v[31:34], v[16:17], off offset:6048
	global_load_b128 v[35:38], v[16:17], off offset:6064
	;; [unrolled: 1-line block ×3, first 2 shown]
	global_load_b128 v[43:46], v67, s[8:9] offset:12192
	global_load_b128 v[47:50], v67, s[8:9] offset:12208
	;; [unrolled: 1-line block ×3, first 2 shown]
	ds_load_b128 v[55:58], v1
	ds_load_b128 v[59:62], v18 offset:28672
	ds_load_b128 v[63:66], v18 offset:24576
	;; [unrolled: 1-line block ×7, first 2 shown]
	v_cmp_lt_u32_e64 s0, 0x17f, v3
	s_wait_alu 0xf1ff
	s_delay_alu instid0(VALU_DEP_1) | instskip(SKIP_3) | instid1(VALU_DEP_3)
	v_cndmask_b32_e64 v9, 0, 0x600, s0
	v_add_co_u32 v3, s0, s8, v12
	s_wait_alu 0xf1ff
	v_add_co_ci_u32_e64 v4, s0, s9, v13, s0
	v_or_b32_e32 v0, v9, v0
	s_delay_alu instid0(VALU_DEP_1)
	v_lshl_add_u32 v0, v0, 4, 0
	s_wait_loadcnt_dscnt 0x807
	v_mul_f64_e32 v[16:17], v[57:58], v[21:22]
	v_mul_f64_e32 v[21:22], v[55:56], v[21:22]
	s_wait_loadcnt_dscnt 0x705
	v_mul_f64_e32 v[87:88], v[65:66], v[25:26]
	v_mul_f64_e32 v[25:26], v[63:64], v[25:26]
	;; [unrolled: 3-line block ×3, first 2 shown]
	v_fma_f64 v[16:17], v[55:56], v[19:20], v[16:17]
	v_fma_f64 v[55:56], v[57:58], v[19:20], -v[21:22]
	s_wait_loadcnt_dscnt 0x503
	v_mul_f64_e32 v[57:58], v[73:74], v[33:34]
	v_mul_f64_e32 v[33:34], v[71:72], v[33:34]
	ds_load_b128 v[19:22], v18 offset:40960
	v_fma_f64 v[63:64], v[63:64], v[23:24], v[87:88]
	v_fma_f64 v[65:66], v[65:66], v[23:24], -v[25:26]
	ds_load_b128 v[23:26], v18 offset:45056
	s_wait_loadcnt 0x4
	v_mul_f64_e32 v[87:88], v[61:62], v[37:38]
	v_mul_f64_e32 v[37:38], v[59:60], v[37:38]
	v_fma_f64 v[67:68], v[67:68], v[27:28], v[89:90]
	v_fma_f64 v[27:28], v[69:70], v[27:28], -v[29:30]
	s_wait_loadcnt_dscnt 0x204
	v_mul_f64_e32 v[69:70], v[77:78], v[45:46]
	v_mul_f64_e32 v[45:46], v[75:76], v[45:46]
	s_wait_dscnt 0x1
	v_mul_f64_e32 v[29:30], v[21:22], v[41:42]
	v_mul_f64_e32 v[41:42], v[19:20], v[41:42]
	v_fma_f64 v[57:58], v[71:72], v[31:32], v[57:58]
	v_fma_f64 v[31:32], v[73:74], v[31:32], -v[33:34]
	s_wait_loadcnt 0x1
	v_mul_f64_e32 v[33:34], v[81:82], v[49:50]
	v_mul_f64_e32 v[49:50], v[79:80], v[49:50]
	s_wait_loadcnt_dscnt 0x0
	v_mul_f64_e32 v[71:72], v[25:26], v[53:54]
	v_mul_f64_e32 v[53:54], v[23:24], v[53:54]
	v_fma_f64 v[59:60], v[59:60], v[35:36], v[87:88]
	v_fma_f64 v[35:36], v[61:62], v[35:36], -v[37:38]
	v_add_f64_e64 v[27:28], v[55:56], -v[27:28]
	v_fma_f64 v[29:30], v[19:20], v[39:40], v[29:30]
	v_fma_f64 v[37:38], v[21:22], v[39:40], -v[41:42]
	v_fma_f64 v[39:40], v[75:76], v[43:44], v[69:70]
	v_fma_f64 v[41:42], v[77:78], v[43:44], -v[45:46]
	;; [unrolled: 2-line block ×4, first 2 shown]
	ds_load_b128 v[19:22], v18
	ds_load_b128 v[23:26], v18 offset:4096
	v_add_f64_e64 v[53:54], v[16:17], -v[67:68]
	global_wb scope:SCOPE_SE
	s_wait_dscnt 0x0
	s_barrier_signal -1
	s_barrier_wait -1
	global_inv scope:SCOPE_SE
	v_add_f64_e64 v[49:50], v[19:20], -v[63:64]
	v_add_f64_e64 v[51:52], v[21:22], -v[65:66]
	;; [unrolled: 1-line block ×10, first 2 shown]
	v_fma_f64 v[33:34], v[55:56], 2.0, -v[27:28]
	v_fma_f64 v[16:17], v[16:17], 2.0, -v[53:54]
	;; [unrolled: 1-line block ×8, first 2 shown]
	v_add_f64_e32 v[19:20], v[49:50], v[27:28]
	v_add_f64_e64 v[21:22], v[51:52], -v[53:54]
	v_add_f64_e32 v[23:24], v[59:60], v[29:30]
	v_fma_f64 v[73:74], v[83:84], 2.0, -v[63:64]
	v_fma_f64 v[75:76], v[85:86], 2.0, -v[65:66]
	v_fma_f64 v[39:40], v[39:40], 2.0, -v[37:38]
	v_fma_f64 v[41:42], v[41:42], 2.0, -v[43:44]
	v_add_f64_e64 v[37:38], v[65:66], -v[37:38]
	v_add_f64_e64 v[27:28], v[67:68], -v[16:17]
	v_add_f64_e64 v[29:30], v[69:70], -v[33:34]
	v_add_co_u32 v16, s0, s8, v14
	v_add_f64_e64 v[31:32], v[55:56], -v[25:26]
	v_add_f64_e64 v[33:34], v[71:72], -v[45:46]
	;; [unrolled: 1-line block ×3, first 2 shown]
	v_add_f64_e32 v[35:36], v[63:64], v[43:44]
	v_fma_f64 v[45:46], v[51:52], 2.0, -v[21:22]
	v_fma_f64 v[43:44], v[49:50], 2.0, -v[19:20]
	;; [unrolled: 1-line block ×3, first 2 shown]
	s_wait_alu 0xf1ff
	v_add_co_ci_u32_e64 v17, s0, s9, v15, s0
	v_add_f64_e64 v[39:40], v[73:74], -v[39:40]
	v_add_f64_e64 v[41:42], v[75:76], -v[41:42]
	v_fma_f64 v[51:52], v[67:68], 2.0, -v[27:28]
	v_fma_f64 v[53:54], v[69:70], 2.0, -v[29:30]
	;; [unrolled: 1-line block ×9, first 2 shown]
	ds_store_b128 v18, v[27:30] offset:12288
	ds_store_b128 v18, v[19:22] offset:18432
	ds_store_b128 v18, v[51:54]
	ds_store_b128 v18, v[43:46] offset:6144
	ds_store_b128 v0, v[55:58]
	ds_store_b128 v0, v[47:50] offset:6144
	ds_store_b128 v0, v[31:34] offset:12288
	;; [unrolled: 1-line block ×7, first 2 shown]
	global_wb scope:SCOPE_SE
	s_wait_dscnt 0x0
	s_barrier_signal -1
	s_barrier_wait -1
	global_inv scope:SCOPE_SE
	s_clause 0x5
	global_load_b128 v[12:15], v[3:4], off offset:24480
	global_load_b128 v[19:22], v[16:17], off offset:28576
	;; [unrolled: 1-line block ×3, first 2 shown]
	global_load_b128 v[27:30], v2, s[8:9] offset:24480
	global_load_b128 v[31:34], v[16:17], off offset:40864
	global_load_b128 v[35:38], v[16:17], off offset:44960
	ds_load_b128 v[39:42], v18 offset:24576
	ds_load_b128 v[43:46], v18 offset:28672
	;; [unrolled: 1-line block ×7, first 2 shown]
	s_wait_loadcnt_dscnt 0x506
	v_mul_f64_e32 v[2:3], v[41:42], v[14:15]
	v_mul_f64_e32 v[14:15], v[39:40], v[14:15]
	s_wait_loadcnt_dscnt 0x405
	v_mul_f64_e32 v[16:17], v[45:46], v[21:22]
	v_mul_f64_e32 v[21:22], v[43:44], v[21:22]
	s_wait_loadcnt_dscnt 0x304
	v_mul_f64_e32 v[67:68], v[49:50], v[25:26]
	v_mul_f64_e32 v[25:26], v[47:48], v[25:26]
	s_wait_loadcnt_dscnt 0x203
	v_mul_f64_e32 v[69:70], v[53:54], v[29:30]
	v_mul_f64_e32 v[29:30], v[51:52], v[29:30]
	s_wait_loadcnt_dscnt 0x102
	v_mul_f64_e32 v[71:72], v[57:58], v[33:34]
	v_mul_f64_e32 v[33:34], v[55:56], v[33:34]
	s_wait_loadcnt_dscnt 0x1
	v_mul_f64_e32 v[73:74], v[61:62], v[37:38]
	v_mul_f64_e32 v[37:38], v[59:60], v[37:38]
	v_fma_f64 v[2:3], v[39:40], v[12:13], v[2:3]
	v_fma_f64 v[39:40], v[41:42], v[12:13], -v[14:15]
	v_fma_f64 v[16:17], v[43:44], v[19:20], v[16:17]
	v_fma_f64 v[41:42], v[45:46], v[19:20], -v[21:22]
	v_fma_f64 v[43:44], v[47:48], v[23:24], v[67:68]
	v_fma_f64 v[45:46], v[49:50], v[23:24], -v[25:26]
	v_fma_f64 v[47:48], v[51:52], v[27:28], v[69:70]
	v_fma_f64 v[49:50], v[53:54], v[27:28], -v[29:30]
	v_fma_f64 v[51:52], v[55:56], v[31:32], v[71:72]
	v_fma_f64 v[53:54], v[57:58], v[31:32], -v[33:34]
	v_fma_f64 v[55:56], v[59:60], v[35:36], v[73:74]
	v_fma_f64 v[57:58], v[61:62], v[35:36], -v[37:38]
	ds_load_b128 v[12:15], v18
	ds_load_b128 v[19:22], v18 offset:4096
	ds_load_b128 v[23:26], v18 offset:8192
	ds_load_b128 v[27:30], v1
	ds_load_b128 v[31:34], v18 offset:16384
	global_wb scope:SCOPE_SE
	s_wait_dscnt 0x0
	s_barrier_signal -1
	s_barrier_wait -1
	global_inv scope:SCOPE_SE
	v_add_f64_e64 v[35:36], v[12:13], -v[2:3]
	v_add_f64_e64 v[37:38], v[14:15], -v[39:40]
	v_add_f64_e64 v[39:40], v[19:20], -v[16:17]
	v_add_f64_e64 v[41:42], v[21:22], -v[41:42]
	v_add_f64_e64 v[43:44], v[23:24], -v[43:44]
	v_add_f64_e64 v[45:46], v[25:26], -v[45:46]
	v_add_f64_e64 v[47:48], v[27:28], -v[47:48]
	v_add_f64_e64 v[49:50], v[29:30], -v[49:50]
	v_add_f64_e64 v[51:52], v[31:32], -v[51:52]
	v_add_f64_e64 v[53:54], v[33:34], -v[53:54]
	v_add_f64_e64 v[55:56], v[63:64], -v[55:56]
	v_add_f64_e64 v[57:58], v[65:66], -v[57:58]
	v_fma_f64 v[12:13], v[12:13], 2.0, -v[35:36]
	v_fma_f64 v[14:15], v[14:15], 2.0, -v[37:38]
	;; [unrolled: 1-line block ×12, first 2 shown]
	ds_store_b128 v18, v[35:38] offset:24576
	ds_store_b128 v18, v[39:42] offset:28672
	;; [unrolled: 1-line block ×4, first 2 shown]
	ds_store_b128 v18, v[12:15]
	ds_store_b128 v18, v[43:46] offset:32768
	ds_store_b128 v1, v[27:30]
	ds_store_b128 v1, v[47:50] offset:24576
	ds_store_b128 v18, v[31:34] offset:16384
	;; [unrolled: 1-line block ×5, first 2 shown]
	global_wb scope:SCOPE_SE
	s_wait_dscnt 0x0
	s_barrier_signal -1
	s_barrier_wait -1
	global_inv scope:SCOPE_SE
	s_and_saveexec_b32 s0, vcc_lo
	s_cbranch_execz .LBB0_21
; %bb.20:
	v_mul_lo_u32 v2, s3, v7
	v_mul_lo_u32 v3, s2, v8
	v_mad_co_u64_u32 v[0:1], null, s2, v7, 0
	v_dual_mov_b32 v12, v10 :: v_dual_add_nc_u32 v9, 0x100, v11
	v_lshl_add_u32 v8, v11, 4, 0
	v_lshlrev_b64_e32 v[13:14], 4, v[5:6]
	s_delay_alu instid0(VALU_DEP_3) | instskip(SKIP_1) | instid1(VALU_DEP_1)
	v_lshlrev_b64_e32 v[17:18], 4, v[11:12]
	v_add3_u32 v1, v1, v3, v2
	v_lshlrev_b64_e32 v[15:16], 4, v[0:1]
	ds_load_b128 v[0:3], v8
	ds_load_b128 v[4:7], v8 offset:4096
	v_add_co_u32 v12, vcc_lo, s6, v15
	s_wait_alu 0xfffd
	v_add_co_ci_u32_e32 v19, vcc_lo, s7, v16, vcc_lo
	v_lshlrev_b64_e32 v[15:16], 4, v[9:10]
	s_delay_alu instid0(VALU_DEP_3) | instskip(SKIP_1) | instid1(VALU_DEP_3)
	v_add_co_u32 v38, vcc_lo, v12, v13
	s_wait_alu 0xfffd
	v_add_co_ci_u32_e32 v39, vcc_lo, v19, v14, vcc_lo
	v_add_nc_u32_e32 v9, 0x200, v11
	s_delay_alu instid0(VALU_DEP_3) | instskip(SKIP_1) | instid1(VALU_DEP_3)
	v_add_co_u32 v12, vcc_lo, v38, v17
	s_wait_alu 0xfffd
	v_add_co_ci_u32_e32 v13, vcc_lo, v39, v18, vcc_lo
	v_add_co_u32 v14, vcc_lo, v38, v15
	s_wait_alu 0xfffd
	v_add_co_ci_u32_e32 v15, vcc_lo, v39, v16, vcc_lo
	v_lshlrev_b64_e32 v[16:17], 4, v[9:10]
	v_add_nc_u32_e32 v9, 0x300, v11
	s_wait_dscnt 0x1
	global_store_b128 v[12:13], v[0:3], off
	s_wait_dscnt 0x0
	global_store_b128 v[14:15], v[4:7], off
	ds_load_b128 v[0:3], v8 offset:8192
	ds_load_b128 v[4:7], v8 offset:12288
	v_add_co_u32 v22, vcc_lo, v38, v16
	v_lshlrev_b64_e32 v[20:21], 4, v[9:10]
	v_add_nc_u32_e32 v9, 0x400, v11
	s_wait_alu 0xfffd
	v_add_co_ci_u32_e32 v23, vcc_lo, v39, v17, vcc_lo
	ds_load_b128 v[12:15], v8 offset:16384
	ds_load_b128 v[16:19], v8 offset:20480
	v_lshlrev_b64_e32 v[24:25], 4, v[9:10]
	v_add_nc_u32_e32 v9, 0x500, v11
	v_add_co_u32 v20, vcc_lo, v38, v20
	s_wait_alu 0xfffd
	v_add_co_ci_u32_e32 v21, vcc_lo, v39, v21, vcc_lo
	s_delay_alu instid0(VALU_DEP_3) | instskip(SKIP_4) | instid1(VALU_DEP_3)
	v_lshlrev_b64_e32 v[26:27], 4, v[9:10]
	v_add_nc_u32_e32 v9, 0x600, v11
	v_add_co_u32 v24, vcc_lo, v38, v24
	s_wait_alu 0xfffd
	v_add_co_ci_u32_e32 v25, vcc_lo, v39, v25, vcc_lo
	v_lshlrev_b64_e32 v[28:29], 4, v[9:10]
	v_add_nc_u32_e32 v9, 0x700, v11
	v_add_co_u32 v26, vcc_lo, v38, v26
	s_wait_alu 0xfffd
	v_add_co_ci_u32_e32 v27, vcc_lo, v39, v27, vcc_lo
	s_wait_dscnt 0x3
	global_store_b128 v[22:23], v[0:3], off
	s_wait_dscnt 0x2
	global_store_b128 v[20:21], v[4:7], off
	;; [unrolled: 2-line block ×4, first 2 shown]
	v_lshlrev_b64_e32 v[12:13], 4, v[9:10]
	v_add_nc_u32_e32 v9, 0x800, v11
	v_add_co_u32 v28, vcc_lo, v38, v28
	s_wait_alu 0xfffd
	v_add_co_ci_u32_e32 v29, vcc_lo, v39, v29, vcc_lo
	s_delay_alu instid0(VALU_DEP_3) | instskip(SKIP_4) | instid1(VALU_DEP_4)
	v_lshlrev_b64_e32 v[14:15], 4, v[9:10]
	v_add_co_u32 v30, vcc_lo, v38, v12
	v_add_nc_u32_e32 v9, 0x900, v11
	s_wait_alu 0xfffd
	v_add_co_ci_u32_e32 v31, vcc_lo, v39, v13, vcc_lo
	v_add_co_u32 v34, vcc_lo, v38, v14
	ds_load_b128 v[0:3], v8 offset:24576
	ds_load_b128 v[4:7], v8 offset:28672
	s_wait_alu 0xfffd
	v_add_co_ci_u32_e32 v35, vcc_lo, v39, v15, vcc_lo
	ds_load_b128 v[12:15], v8 offset:32768
	ds_load_b128 v[16:19], v8 offset:36864
	;; [unrolled: 1-line block ×4, first 2 shown]
	v_lshlrev_b64_e32 v[32:33], 4, v[9:10]
	v_add_nc_u32_e32 v9, 0xa00, v11
	s_delay_alu instid0(VALU_DEP_1) | instskip(SKIP_1) | instid1(VALU_DEP_4)
	v_lshlrev_b64_e32 v[36:37], 4, v[9:10]
	v_add_nc_u32_e32 v9, 0xb00, v11
	v_add_co_u32 v32, vcc_lo, v38, v32
	s_wait_alu 0xfffd
	v_add_co_ci_u32_e32 v33, vcc_lo, v39, v33, vcc_lo
	s_delay_alu instid0(VALU_DEP_3) | instskip(SKIP_3) | instid1(VALU_DEP_3)
	v_lshlrev_b64_e32 v[8:9], 4, v[9:10]
	v_add_co_u32 v10, vcc_lo, v38, v36
	s_wait_alu 0xfffd
	v_add_co_ci_u32_e32 v11, vcc_lo, v39, v37, vcc_lo
	v_add_co_u32 v8, vcc_lo, v38, v8
	s_wait_alu 0xfffd
	v_add_co_ci_u32_e32 v9, vcc_lo, v39, v9, vcc_lo
	s_wait_dscnt 0x5
	global_store_b128 v[28:29], v[0:3], off
	s_wait_dscnt 0x4
	global_store_b128 v[30:31], v[4:7], off
	;; [unrolled: 2-line block ×6, first 2 shown]
.LBB0_21:
	s_nop 0
	s_sendmsg sendmsg(MSG_DEALLOC_VGPRS)
	s_endpgm
	.section	.rodata,"a",@progbits
	.p2align	6, 0x0
	.amdhsa_kernel fft_rtc_back_len3072_factors_6_4_4_4_4_2_wgs_256_tpt_256_halfLds_dp_op_CI_CI_unitstride_sbrr_C2R_dirReg
		.amdhsa_group_segment_fixed_size 0
		.amdhsa_private_segment_fixed_size 0
		.amdhsa_kernarg_size 104
		.amdhsa_user_sgpr_count 2
		.amdhsa_user_sgpr_dispatch_ptr 0
		.amdhsa_user_sgpr_queue_ptr 0
		.amdhsa_user_sgpr_kernarg_segment_ptr 1
		.amdhsa_user_sgpr_dispatch_id 0
		.amdhsa_user_sgpr_private_segment_size 0
		.amdhsa_wavefront_size32 1
		.amdhsa_uses_dynamic_stack 0
		.amdhsa_enable_private_segment 0
		.amdhsa_system_sgpr_workgroup_id_x 1
		.amdhsa_system_sgpr_workgroup_id_y 0
		.amdhsa_system_sgpr_workgroup_id_z 0
		.amdhsa_system_sgpr_workgroup_info 0
		.amdhsa_system_vgpr_workitem_id 0
		.amdhsa_next_free_vgpr 95
		.amdhsa_next_free_sgpr 39
		.amdhsa_reserve_vcc 1
		.amdhsa_float_round_mode_32 0
		.amdhsa_float_round_mode_16_64 0
		.amdhsa_float_denorm_mode_32 3
		.amdhsa_float_denorm_mode_16_64 3
		.amdhsa_fp16_overflow 0
		.amdhsa_workgroup_processor_mode 1
		.amdhsa_memory_ordered 1
		.amdhsa_forward_progress 0
		.amdhsa_round_robin_scheduling 0
		.amdhsa_exception_fp_ieee_invalid_op 0
		.amdhsa_exception_fp_denorm_src 0
		.amdhsa_exception_fp_ieee_div_zero 0
		.amdhsa_exception_fp_ieee_overflow 0
		.amdhsa_exception_fp_ieee_underflow 0
		.amdhsa_exception_fp_ieee_inexact 0
		.amdhsa_exception_int_div_zero 0
	.end_amdhsa_kernel
	.text
.Lfunc_end0:
	.size	fft_rtc_back_len3072_factors_6_4_4_4_4_2_wgs_256_tpt_256_halfLds_dp_op_CI_CI_unitstride_sbrr_C2R_dirReg, .Lfunc_end0-fft_rtc_back_len3072_factors_6_4_4_4_4_2_wgs_256_tpt_256_halfLds_dp_op_CI_CI_unitstride_sbrr_C2R_dirReg
                                        ; -- End function
	.section	.AMDGPU.csdata,"",@progbits
; Kernel info:
; codeLenInByte = 10504
; NumSgprs: 41
; NumVgprs: 95
; ScratchSize: 0
; MemoryBound: 0
; FloatMode: 240
; IeeeMode: 1
; LDSByteSize: 0 bytes/workgroup (compile time only)
; SGPRBlocks: 5
; VGPRBlocks: 11
; NumSGPRsForWavesPerEU: 41
; NumVGPRsForWavesPerEU: 95
; Occupancy: 16
; WaveLimiterHint : 1
; COMPUTE_PGM_RSRC2:SCRATCH_EN: 0
; COMPUTE_PGM_RSRC2:USER_SGPR: 2
; COMPUTE_PGM_RSRC2:TRAP_HANDLER: 0
; COMPUTE_PGM_RSRC2:TGID_X_EN: 1
; COMPUTE_PGM_RSRC2:TGID_Y_EN: 0
; COMPUTE_PGM_RSRC2:TGID_Z_EN: 0
; COMPUTE_PGM_RSRC2:TIDIG_COMP_CNT: 0
	.text
	.p2alignl 7, 3214868480
	.fill 96, 4, 3214868480
	.type	__hip_cuid_27972836ca1c5a2a,@object ; @__hip_cuid_27972836ca1c5a2a
	.section	.bss,"aw",@nobits
	.globl	__hip_cuid_27972836ca1c5a2a
__hip_cuid_27972836ca1c5a2a:
	.byte	0                               ; 0x0
	.size	__hip_cuid_27972836ca1c5a2a, 1

	.ident	"AMD clang version 19.0.0git (https://github.com/RadeonOpenCompute/llvm-project roc-6.4.0 25133 c7fe45cf4b819c5991fe208aaa96edf142730f1d)"
	.section	".note.GNU-stack","",@progbits
	.addrsig
	.addrsig_sym __hip_cuid_27972836ca1c5a2a
	.amdgpu_metadata
---
amdhsa.kernels:
  - .args:
      - .actual_access:  read_only
        .address_space:  global
        .offset:         0
        .size:           8
        .value_kind:     global_buffer
      - .offset:         8
        .size:           8
        .value_kind:     by_value
      - .actual_access:  read_only
        .address_space:  global
        .offset:         16
        .size:           8
        .value_kind:     global_buffer
      - .actual_access:  read_only
        .address_space:  global
        .offset:         24
        .size:           8
        .value_kind:     global_buffer
      - .actual_access:  read_only
        .address_space:  global
        .offset:         32
        .size:           8
        .value_kind:     global_buffer
      - .offset:         40
        .size:           8
        .value_kind:     by_value
      - .actual_access:  read_only
        .address_space:  global
        .offset:         48
        .size:           8
        .value_kind:     global_buffer
      - .actual_access:  read_only
        .address_space:  global
        .offset:         56
        .size:           8
        .value_kind:     global_buffer
      - .offset:         64
        .size:           4
        .value_kind:     by_value
      - .actual_access:  read_only
        .address_space:  global
        .offset:         72
        .size:           8
        .value_kind:     global_buffer
      - .actual_access:  read_only
        .address_space:  global
        .offset:         80
        .size:           8
        .value_kind:     global_buffer
      - .actual_access:  read_only
        .address_space:  global
        .offset:         88
        .size:           8
        .value_kind:     global_buffer
      - .actual_access:  write_only
        .address_space:  global
        .offset:         96
        .size:           8
        .value_kind:     global_buffer
    .group_segment_fixed_size: 0
    .kernarg_segment_align: 8
    .kernarg_segment_size: 104
    .language:       OpenCL C
    .language_version:
      - 2
      - 0
    .max_flat_workgroup_size: 256
    .name:           fft_rtc_back_len3072_factors_6_4_4_4_4_2_wgs_256_tpt_256_halfLds_dp_op_CI_CI_unitstride_sbrr_C2R_dirReg
    .private_segment_fixed_size: 0
    .sgpr_count:     41
    .sgpr_spill_count: 0
    .symbol:         fft_rtc_back_len3072_factors_6_4_4_4_4_2_wgs_256_tpt_256_halfLds_dp_op_CI_CI_unitstride_sbrr_C2R_dirReg.kd
    .uniform_work_group_size: 1
    .uses_dynamic_stack: false
    .vgpr_count:     95
    .vgpr_spill_count: 0
    .wavefront_size: 32
    .workgroup_processor_mode: 1
amdhsa.target:   amdgcn-amd-amdhsa--gfx1201
amdhsa.version:
  - 1
  - 2
...

	.end_amdgpu_metadata
